;; amdgpu-corpus repo=ROCm/rocFFT kind=compiled arch=gfx1201 opt=O3
	.text
	.amdgcn_target "amdgcn-amd-amdhsa--gfx1201"
	.amdhsa_code_object_version 6
	.protected	fft_rtc_back_len1404_factors_2_2_3_13_3_3_wgs_117_tpt_117_halfLds_sp_ip_CI_unitstride_sbrr_dirReg ; -- Begin function fft_rtc_back_len1404_factors_2_2_3_13_3_3_wgs_117_tpt_117_halfLds_sp_ip_CI_unitstride_sbrr_dirReg
	.globl	fft_rtc_back_len1404_factors_2_2_3_13_3_3_wgs_117_tpt_117_halfLds_sp_ip_CI_unitstride_sbrr_dirReg
	.p2align	8
	.type	fft_rtc_back_len1404_factors_2_2_3_13_3_3_wgs_117_tpt_117_halfLds_sp_ip_CI_unitstride_sbrr_dirReg,@function
fft_rtc_back_len1404_factors_2_2_3_13_3_3_wgs_117_tpt_117_halfLds_sp_ip_CI_unitstride_sbrr_dirReg: ; @fft_rtc_back_len1404_factors_2_2_3_13_3_3_wgs_117_tpt_117_halfLds_sp_ip_CI_unitstride_sbrr_dirReg
; %bb.0:
	s_clause 0x2
	s_load_b128 s[4:7], s[0:1], 0x0
	s_load_b64 s[8:9], s[0:1], 0x50
	s_load_b64 s[10:11], s[0:1], 0x18
	v_mul_u32_u24_e32 v1, 0x231, v0
	v_mov_b32_e32 v3, 0
	s_delay_alu instid0(VALU_DEP_2) | instskip(NEXT) | instid1(VALU_DEP_1)
	v_lshrrev_b32_e32 v1, 16, v1
	v_add_nc_u32_e32 v5, ttmp9, v1
	v_mov_b32_e32 v1, 0
	v_mov_b32_e32 v2, 0
	;; [unrolled: 1-line block ×3, first 2 shown]
	s_wait_kmcnt 0x0
	v_cmp_lt_u64_e64 s2, s[6:7], 2
	s_delay_alu instid0(VALU_DEP_1)
	s_and_b32 vcc_lo, exec_lo, s2
	s_cbranch_vccnz .LBB0_8
; %bb.1:
	s_load_b64 s[2:3], s[0:1], 0x10
	v_mov_b32_e32 v1, 0
	v_mov_b32_e32 v2, 0
	s_add_nc_u64 s[12:13], s[10:11], 8
	s_mov_b64 s[14:15], 1
	s_wait_kmcnt 0x0
	s_add_nc_u64 s[16:17], s[2:3], 8
	s_mov_b32 s3, 0
.LBB0_2:                                ; =>This Inner Loop Header: Depth=1
	s_load_b64 s[18:19], s[16:17], 0x0
                                        ; implicit-def: $vgpr7_vgpr8
	s_mov_b32 s2, exec_lo
	s_wait_kmcnt 0x0
	v_or_b32_e32 v4, s19, v6
	s_delay_alu instid0(VALU_DEP_1)
	v_cmpx_ne_u64_e32 0, v[3:4]
	s_wait_alu 0xfffe
	s_xor_b32 s20, exec_lo, s2
	s_cbranch_execz .LBB0_4
; %bb.3:                                ;   in Loop: Header=BB0_2 Depth=1
	s_cvt_f32_u32 s2, s18
	s_cvt_f32_u32 s21, s19
	s_sub_nc_u64 s[24:25], 0, s[18:19]
	s_wait_alu 0xfffe
	s_delay_alu instid0(SALU_CYCLE_1) | instskip(SKIP_1) | instid1(SALU_CYCLE_2)
	s_fmamk_f32 s2, s21, 0x4f800000, s2
	s_wait_alu 0xfffe
	v_s_rcp_f32 s2, s2
	s_delay_alu instid0(TRANS32_DEP_1) | instskip(SKIP_1) | instid1(SALU_CYCLE_2)
	s_mul_f32 s2, s2, 0x5f7ffffc
	s_wait_alu 0xfffe
	s_mul_f32 s21, s2, 0x2f800000
	s_wait_alu 0xfffe
	s_delay_alu instid0(SALU_CYCLE_2) | instskip(SKIP_1) | instid1(SALU_CYCLE_2)
	s_trunc_f32 s21, s21
	s_wait_alu 0xfffe
	s_fmamk_f32 s2, s21, 0xcf800000, s2
	s_cvt_u32_f32 s23, s21
	s_wait_alu 0xfffe
	s_delay_alu instid0(SALU_CYCLE_1) | instskip(SKIP_1) | instid1(SALU_CYCLE_2)
	s_cvt_u32_f32 s22, s2
	s_wait_alu 0xfffe
	s_mul_u64 s[26:27], s[24:25], s[22:23]
	s_wait_alu 0xfffe
	s_mul_hi_u32 s29, s22, s27
	s_mul_i32 s28, s22, s27
	s_mul_hi_u32 s2, s22, s26
	s_mul_i32 s30, s23, s26
	s_wait_alu 0xfffe
	s_add_nc_u64 s[28:29], s[2:3], s[28:29]
	s_mul_hi_u32 s21, s23, s26
	s_mul_hi_u32 s31, s23, s27
	s_add_co_u32 s2, s28, s30
	s_wait_alu 0xfffe
	s_add_co_ci_u32 s2, s29, s21
	s_mul_i32 s26, s23, s27
	s_add_co_ci_u32 s27, s31, 0
	s_wait_alu 0xfffe
	s_add_nc_u64 s[26:27], s[2:3], s[26:27]
	s_wait_alu 0xfffe
	v_add_co_u32 v4, s2, s22, s26
	s_delay_alu instid0(VALU_DEP_1) | instskip(SKIP_1) | instid1(VALU_DEP_1)
	s_cmp_lg_u32 s2, 0
	s_add_co_ci_u32 s23, s23, s27
	v_readfirstlane_b32 s22, v4
	s_wait_alu 0xfffe
	s_delay_alu instid0(VALU_DEP_1)
	s_mul_u64 s[24:25], s[24:25], s[22:23]
	s_wait_alu 0xfffe
	s_mul_hi_u32 s27, s22, s25
	s_mul_i32 s26, s22, s25
	s_mul_hi_u32 s2, s22, s24
	s_mul_i32 s28, s23, s24
	s_wait_alu 0xfffe
	s_add_nc_u64 s[26:27], s[2:3], s[26:27]
	s_mul_hi_u32 s21, s23, s24
	s_mul_hi_u32 s22, s23, s25
	s_wait_alu 0xfffe
	s_add_co_u32 s2, s26, s28
	s_add_co_ci_u32 s2, s27, s21
	s_mul_i32 s24, s23, s25
	s_add_co_ci_u32 s25, s22, 0
	s_wait_alu 0xfffe
	s_add_nc_u64 s[24:25], s[2:3], s[24:25]
	s_wait_alu 0xfffe
	v_add_co_u32 v4, s2, v4, s24
	s_delay_alu instid0(VALU_DEP_1) | instskip(SKIP_1) | instid1(VALU_DEP_1)
	s_cmp_lg_u32 s2, 0
	s_add_co_ci_u32 s2, s23, s25
	v_mul_hi_u32 v13, v5, v4
	s_wait_alu 0xfffe
	v_mad_co_u64_u32 v[7:8], null, v5, s2, 0
	v_mad_co_u64_u32 v[9:10], null, v6, v4, 0
	;; [unrolled: 1-line block ×3, first 2 shown]
	s_delay_alu instid0(VALU_DEP_3) | instskip(SKIP_1) | instid1(VALU_DEP_4)
	v_add_co_u32 v4, vcc_lo, v13, v7
	s_wait_alu 0xfffd
	v_add_co_ci_u32_e32 v7, vcc_lo, 0, v8, vcc_lo
	s_delay_alu instid0(VALU_DEP_2) | instskip(SKIP_1) | instid1(VALU_DEP_2)
	v_add_co_u32 v4, vcc_lo, v4, v9
	s_wait_alu 0xfffd
	v_add_co_ci_u32_e32 v4, vcc_lo, v7, v10, vcc_lo
	s_wait_alu 0xfffd
	v_add_co_ci_u32_e32 v7, vcc_lo, 0, v12, vcc_lo
	s_delay_alu instid0(VALU_DEP_2) | instskip(SKIP_1) | instid1(VALU_DEP_2)
	v_add_co_u32 v4, vcc_lo, v4, v11
	s_wait_alu 0xfffd
	v_add_co_ci_u32_e32 v9, vcc_lo, 0, v7, vcc_lo
	s_delay_alu instid0(VALU_DEP_2) | instskip(SKIP_1) | instid1(VALU_DEP_3)
	v_mul_lo_u32 v10, s19, v4
	v_mad_co_u64_u32 v[7:8], null, s18, v4, 0
	v_mul_lo_u32 v11, s18, v9
	s_delay_alu instid0(VALU_DEP_2) | instskip(NEXT) | instid1(VALU_DEP_2)
	v_sub_co_u32 v7, vcc_lo, v5, v7
	v_add3_u32 v8, v8, v11, v10
	s_delay_alu instid0(VALU_DEP_1) | instskip(SKIP_1) | instid1(VALU_DEP_1)
	v_sub_nc_u32_e32 v10, v6, v8
	s_wait_alu 0xfffd
	v_subrev_co_ci_u32_e64 v10, s2, s19, v10, vcc_lo
	v_add_co_u32 v11, s2, v4, 2
	s_wait_alu 0xf1ff
	v_add_co_ci_u32_e64 v12, s2, 0, v9, s2
	v_sub_co_u32 v13, s2, v7, s18
	v_sub_co_ci_u32_e32 v8, vcc_lo, v6, v8, vcc_lo
	s_wait_alu 0xf1ff
	v_subrev_co_ci_u32_e64 v10, s2, 0, v10, s2
	s_delay_alu instid0(VALU_DEP_3) | instskip(NEXT) | instid1(VALU_DEP_3)
	v_cmp_le_u32_e32 vcc_lo, s18, v13
	v_cmp_eq_u32_e64 s2, s19, v8
	s_wait_alu 0xfffd
	v_cndmask_b32_e64 v13, 0, -1, vcc_lo
	v_cmp_le_u32_e32 vcc_lo, s19, v10
	s_wait_alu 0xfffd
	v_cndmask_b32_e64 v14, 0, -1, vcc_lo
	v_cmp_le_u32_e32 vcc_lo, s18, v7
	;; [unrolled: 3-line block ×3, first 2 shown]
	s_wait_alu 0xfffd
	v_cndmask_b32_e64 v15, 0, -1, vcc_lo
	v_cmp_eq_u32_e32 vcc_lo, s19, v10
	s_wait_alu 0xf1ff
	s_delay_alu instid0(VALU_DEP_2)
	v_cndmask_b32_e64 v7, v15, v7, s2
	s_wait_alu 0xfffd
	v_cndmask_b32_e32 v10, v14, v13, vcc_lo
	v_add_co_u32 v13, vcc_lo, v4, 1
	s_wait_alu 0xfffd
	v_add_co_ci_u32_e32 v14, vcc_lo, 0, v9, vcc_lo
	s_delay_alu instid0(VALU_DEP_3) | instskip(SKIP_2) | instid1(VALU_DEP_3)
	v_cmp_ne_u32_e32 vcc_lo, 0, v10
	s_wait_alu 0xfffd
	v_cndmask_b32_e32 v10, v13, v11, vcc_lo
	v_cndmask_b32_e32 v8, v14, v12, vcc_lo
	v_cmp_ne_u32_e32 vcc_lo, 0, v7
	s_wait_alu 0xfffd
	s_delay_alu instid0(VALU_DEP_2)
	v_dual_cndmask_b32 v7, v4, v10 :: v_dual_cndmask_b32 v8, v9, v8
.LBB0_4:                                ;   in Loop: Header=BB0_2 Depth=1
	s_wait_alu 0xfffe
	s_and_not1_saveexec_b32 s2, s20
	s_cbranch_execz .LBB0_6
; %bb.5:                                ;   in Loop: Header=BB0_2 Depth=1
	v_cvt_f32_u32_e32 v4, s18
	s_sub_co_i32 s20, 0, s18
	s_delay_alu instid0(VALU_DEP_1) | instskip(NEXT) | instid1(TRANS32_DEP_1)
	v_rcp_iflag_f32_e32 v4, v4
	v_mul_f32_e32 v4, 0x4f7ffffe, v4
	s_delay_alu instid0(VALU_DEP_1) | instskip(SKIP_1) | instid1(VALU_DEP_1)
	v_cvt_u32_f32_e32 v4, v4
	s_wait_alu 0xfffe
	v_mul_lo_u32 v7, s20, v4
	s_delay_alu instid0(VALU_DEP_1) | instskip(NEXT) | instid1(VALU_DEP_1)
	v_mul_hi_u32 v7, v4, v7
	v_add_nc_u32_e32 v4, v4, v7
	s_delay_alu instid0(VALU_DEP_1) | instskip(NEXT) | instid1(VALU_DEP_1)
	v_mul_hi_u32 v4, v5, v4
	v_mul_lo_u32 v7, v4, s18
	v_add_nc_u32_e32 v8, 1, v4
	s_delay_alu instid0(VALU_DEP_2) | instskip(NEXT) | instid1(VALU_DEP_1)
	v_sub_nc_u32_e32 v7, v5, v7
	v_subrev_nc_u32_e32 v9, s18, v7
	v_cmp_le_u32_e32 vcc_lo, s18, v7
	s_wait_alu 0xfffd
	s_delay_alu instid0(VALU_DEP_2) | instskip(NEXT) | instid1(VALU_DEP_1)
	v_dual_cndmask_b32 v7, v7, v9 :: v_dual_cndmask_b32 v4, v4, v8
	v_cmp_le_u32_e32 vcc_lo, s18, v7
	s_delay_alu instid0(VALU_DEP_2) | instskip(SKIP_1) | instid1(VALU_DEP_1)
	v_add_nc_u32_e32 v8, 1, v4
	s_wait_alu 0xfffd
	v_dual_cndmask_b32 v7, v4, v8 :: v_dual_mov_b32 v8, v3
.LBB0_6:                                ;   in Loop: Header=BB0_2 Depth=1
	s_wait_alu 0xfffe
	s_or_b32 exec_lo, exec_lo, s2
	s_load_b64 s[20:21], s[12:13], 0x0
	s_delay_alu instid0(VALU_DEP_1)
	v_mul_lo_u32 v4, v8, s18
	v_mul_lo_u32 v11, v7, s19
	v_mad_co_u64_u32 v[9:10], null, v7, s18, 0
	s_add_nc_u64 s[14:15], s[14:15], 1
	s_add_nc_u64 s[12:13], s[12:13], 8
	s_wait_alu 0xfffe
	v_cmp_ge_u64_e64 s2, s[14:15], s[6:7]
	s_add_nc_u64 s[16:17], s[16:17], 8
	s_delay_alu instid0(VALU_DEP_2) | instskip(NEXT) | instid1(VALU_DEP_3)
	v_add3_u32 v4, v10, v11, v4
	v_sub_co_u32 v5, vcc_lo, v5, v9
	s_wait_alu 0xfffd
	s_delay_alu instid0(VALU_DEP_2) | instskip(SKIP_3) | instid1(VALU_DEP_2)
	v_sub_co_ci_u32_e32 v4, vcc_lo, v6, v4, vcc_lo
	s_and_b32 vcc_lo, exec_lo, s2
	s_wait_kmcnt 0x0
	v_mul_lo_u32 v6, s21, v5
	v_mul_lo_u32 v4, s20, v4
	v_mad_co_u64_u32 v[1:2], null, s20, v5, v[1:2]
	s_delay_alu instid0(VALU_DEP_1)
	v_add3_u32 v2, v6, v2, v4
	s_wait_alu 0xfffe
	s_cbranch_vccnz .LBB0_9
; %bb.7:                                ;   in Loop: Header=BB0_2 Depth=1
	v_dual_mov_b32 v5, v7 :: v_dual_mov_b32 v6, v8
	s_branch .LBB0_2
.LBB0_8:
	v_dual_mov_b32 v8, v6 :: v_dual_mov_b32 v7, v5
.LBB0_9:
	s_lshl_b64 s[2:3], s[6:7], 3
	v_mul_hi_u32 v3, 0x2302303, v0
	s_wait_alu 0xfffe
	s_add_nc_u64 s[2:3], s[10:11], s[2:3]
	v_mov_b32_e32 v4, 0
	s_load_b64 s[2:3], s[2:3], 0x0
	s_load_b64 s[0:1], s[0:1], 0x20
	v_mov_b32_e32 v5, 0
                                        ; implicit-def: $vgpr28
                                        ; implicit-def: $vgpr18
                                        ; implicit-def: $vgpr26
                                        ; implicit-def: $vgpr20
                                        ; implicit-def: $vgpr22
                                        ; implicit-def: $vgpr24
	s_delay_alu instid0(VALU_DEP_3) | instskip(NEXT) | instid1(VALU_DEP_2)
	v_mul_u32_u24_e32 v3, 0x75, v3
	v_dual_mov_b32 v12, v5 :: v_dual_mov_b32 v11, v4
	v_dual_mov_b32 v14, v5 :: v_dual_mov_b32 v13, v4
	s_delay_alu instid0(VALU_DEP_3)
	v_sub_nc_u32_e32 v0, v0, v3
	v_dual_mov_b32 v16, v5 :: v_dual_mov_b32 v15, v4
	s_wait_kmcnt 0x0
	v_mul_lo_u32 v6, s2, v8
	v_mul_lo_u32 v9, s3, v7
	v_mad_co_u64_u32 v[1:2], null, s2, v7, v[1:2]
	v_cmp_gt_u64_e32 vcc_lo, s[0:1], v[7:8]
	s_delay_alu instid0(VALU_DEP_2) | instskip(SKIP_2) | instid1(VALU_DEP_3)
	v_add3_u32 v2, v9, v2, v6
	v_dual_mov_b32 v10, v5 :: v_dual_mov_b32 v9, v4
	v_dual_mov_b32 v7, v5 :: v_dual_mov_b32 v6, v4
	v_lshlrev_b64_e32 v[2:3], 3, v[1:2]
	s_and_saveexec_b32 s1, vcc_lo
; %bb.10:
	v_mov_b32_e32 v1, 0
	s_delay_alu instid0(VALU_DEP_1) | instskip(NEXT) | instid1(VALU_DEP_3)
	v_lshlrev_b64_e32 v[4:5], 3, v[0:1]
	v_add_co_u32 v1, s0, s8, v2
	s_wait_alu 0xf1ff
	v_add_co_ci_u32_e64 v6, s0, s9, v3, s0
	s_delay_alu instid0(VALU_DEP_2) | instskip(SKIP_1) | instid1(VALU_DEP_2)
	v_add_co_u32 v19, s0, v1, v4
	s_wait_alu 0xf1ff
	v_add_co_ci_u32_e64 v20, s0, v6, v5, s0
	s_clause 0xb
	global_load_b64 v[17:18], v[19:20], off offset:6552
	global_load_b64 v[4:5], v[19:20], off
	global_load_b64 v[11:12], v[19:20], off offset:936
	global_load_b64 v[13:14], v[19:20], off offset:1872
	;; [unrolled: 1-line block ×10, first 2 shown]
; %bb.11:
	s_wait_alu 0xfffe
	s_or_b32 exec_lo, exec_lo, s1
	s_wait_loadcnt 0x5
	v_dual_sub_f32 v31, v5, v28 :: v_dual_sub_f32 v18, v12, v18
	v_dual_sub_f32 v29, v4, v27 :: v_dual_add_nc_u32 v36, 0x1d4, v0
	v_dual_sub_f32 v27, v11, v17 :: v_dual_add_nc_u32 v40, 0x249, v0
	s_delay_alu instid0(VALU_DEP_3)
	v_fma_f32 v30, v5, 2.0, -v31
	s_wait_loadcnt 0x3
	v_sub_f32_e32 v5, v13, v25
	v_fma_f32 v28, v4, 2.0, -v29
	v_sub_f32_e32 v33, v14, v26
	v_fma_f32 v26, v11, 2.0, -v27
	s_wait_loadcnt 0x1
	v_sub_f32_e32 v11, v6, v21
	v_fma_f32 v4, v13, 2.0, -v5
	v_add_nc_u32_e32 v37, 0x75, v0
	v_sub_f32_e32 v13, v10, v24
	v_fma_f32 v17, v12, 2.0, -v18
	v_lshlrev_b32_e32 v1, 2, v0
	v_sub_f32_e32 v21, v7, v22
	s_wait_loadcnt 0x0
	v_sub_f32_e32 v35, v16, v20
	v_fma_f32 v12, v10, 2.0, -v13
	v_fma_f32 v10, v6, 2.0, -v11
	v_lshl_add_u32 v6, v0, 3, 0
	v_fma_f32 v20, v7, 2.0, -v21
	v_add_nc_u32_e32 v7, 0xea, v0
	v_lshl_add_u32 v8, v37, 3, 0
	v_fma_f32 v34, v16, 2.0, -v35
	v_sub_nc_u32_e32 v1, v6, v1
	v_sub_f32_e32 v25, v9, v23
	v_sub_f32_e32 v23, v15, v19
	v_lshl_add_u32 v16, v7, 3, 0
	v_lshl_add_u32 v41, v36, 3, 0
	v_add_nc_u32_e32 v68, 0x1200, v1
	v_fma_f32 v24, v9, 2.0, -v25
	v_add_nc_u32_e32 v9, 0x15f, v0
	v_add_nc_u32_e32 v46, 0xa00, v1
	v_fma_f32 v22, v15, 2.0, -v23
	v_lshl_add_u32 v42, v40, 3, 0
	v_fma_f32 v32, v14, 2.0, -v33
	v_lshl_add_u32 v19, v9, 3, 0
	ds_store_b64 v6, v[28:29]
	ds_store_b64 v8, v[26:27]
	;; [unrolled: 1-line block ×6, first 2 shown]
	v_add_nc_u32_e32 v5, 0x200, v1
	v_add_nc_u32_e32 v49, 0xe00, v1
	;; [unrolled: 1-line block ×3, first 2 shown]
	global_wb scope:SCOPE_SE
	s_wait_dscnt 0x0
	s_barrier_signal -1
	s_barrier_wait -1
	global_inv scope:SCOPE_SE
	ds_load_2addr_b32 v[14:15], v1 offset1:117
	ds_load_2addr_b32 v[22:23], v46 offset0:62 offset1:179
	ds_load_2addr_b32 v[24:25], v5 offset0:106 offset1:223
	ds_load_2addr_b32 v[26:27], v49 offset0:40 offset1:157
	ds_load_2addr_b32 v[28:29], v11 offset0:84 offset1:201
	ds_load_2addr_b32 v[38:39], v68 offset0:18 offset1:135
	global_wb scope:SCOPE_SE
	s_wait_dscnt 0x0
	s_barrier_signal -1
	s_barrier_wait -1
	global_inv scope:SCOPE_SE
	ds_store_b64 v6, v[30:31]
	ds_store_b64 v8, v[17:18]
	;; [unrolled: 1-line block ×6, first 2 shown]
	v_and_b32_e32 v32, 1, v0
	global_wb scope:SCOPE_SE
	s_wait_dscnt 0x0
	s_barrier_signal -1
	s_barrier_wait -1
	global_inv scope:SCOPE_SE
	v_lshlrev_b32_e32 v4, 3, v32
	v_and_b32_e32 v30, 1, v37
	v_and_b32_e32 v33, 1, v9
	;; [unrolled: 1-line block ×3, first 2 shown]
	v_lshlrev_b32_e32 v35, 1, v36
	global_load_b64 v[12:13], v4, s[4:5]
	v_lshlrev_b32_e32 v6, 3, v30
	v_cmp_gt_u32_e64 s0, 0x6c, v0
	v_and_or_b32 v53, 0x7fc, v35, v32
	global_load_b64 v[16:17], v6, s[4:5]
	v_lshlrev_b32_e32 v4, 3, v33
	v_lshlrev_b32_e32 v6, 3, v34
	s_clause 0x1
	global_load_b64 v[18:19], v4, s[4:5]
	global_load_b64 v[20:21], v6, s[4:5]
	v_lshlrev_b32_e32 v4, 1, v0
	v_lshlrev_b32_e32 v8, 1, v7
	;; [unrolled: 1-line block ×4, first 2 shown]
	v_and_b32_e32 v66, 3, v0
	v_and_or_b32 v31, 0xfc, v4, v32
	v_lshl_add_u32 v53, v53, 2, 0
	v_and_or_b32 v52, 0x3fc, v10, v33
	v_and_or_b32 v36, 0x5fc, v36, v34
	s_delay_alu instid0(VALU_DEP_4) | instskip(NEXT) | instid1(VALU_DEP_3)
	v_lshl_add_u32 v48, v31, 2, 0
	v_lshl_add_u32 v52, v52, 2, 0
	s_delay_alu instid0(VALU_DEP_3)
	v_lshl_add_u32 v36, v36, 2, 0
	s_wait_loadcnt 0x3
	v_mul_f32_e32 v59, v26, v13
	v_and_or_b32 v51, 0x3fc, v8, v32
	ds_load_2addr_b32 v[32:33], v49 offset0:40 offset1:157
	v_mul_f32_e32 v56, v22, v13
	v_lshlrev_b32_e32 v6, 1, v37
	v_lshl_add_u32 v51, v51, 2, 0
	s_wait_dscnt 0x0
	v_mul_f32_e32 v58, v32, v13
	s_wait_loadcnt 0x1
	v_mul_f32_e32 v60, v33, v19
	v_mul_f32_e32 v19, v27, v19
	v_and_or_b32 v50, 0x1fc, v6, v30
	ds_load_2addr_b32 v[30:31], v46 offset0:62 offset1:179
	v_fmac_f32_e32 v58, v26, v12
	ds_load_2addr_b32 v[34:35], v1 offset1:117
	ds_load_2addr_b32 v[40:41], v68 offset0:18 offset1:135
	ds_load_2addr_b32 v[42:43], v5 offset0:106 offset1:223
	;; [unrolled: 1-line block ×3, first 2 shown]
	v_fmac_f32_e32 v60, v27, v18
	v_fma_f32 v18, v33, v18, -v19
	v_and_b32_e32 v67, 3, v37
	v_lshl_add_u32 v50, v50, 2, 0
	global_wb scope:SCOPE_SE
	s_wait_loadcnt_dscnt 0x0
	s_barrier_signal -1
	s_barrier_wait -1
	global_inv scope:SCOPE_SE
	v_dual_mul_f32 v55, v30, v13 :: v_dual_sub_f32 v26, v43, v18
	v_dual_mul_f32 v57, v31, v17 :: v_dual_lshlrev_b32 v54, 4, v67
	v_mul_f32_e32 v17, v23, v17
	v_mul_f32_e32 v61, v40, v13
	;; [unrolled: 1-line block ×3, first 2 shown]
	v_dual_mul_f32 v62, v41, v21 :: v_dual_fmac_f32 v55, v22, v12
	v_fma_f32 v22, v30, v12, -v56
	v_fmac_f32_e32 v57, v23, v16
	v_fma_f32 v16, v31, v16, -v17
	v_fma_f32 v17, v32, v12, -v59
	v_fmac_f32_e32 v61, v38, v12
	v_fma_f32 v12, v40, v12, -v13
	v_mul_f32_e32 v21, v39, v21
	v_dual_fmac_f32 v62, v39, v20 :: v_dual_sub_f32 v19, v14, v55
	s_delay_alu instid0(VALU_DEP_3) | instskip(NEXT) | instid1(VALU_DEP_3)
	v_dual_sub_f32 v12, v44, v12 :: v_dual_lshlrev_b32 v47, 4, v66
	v_fma_f32 v13, v41, v20, -v21
	v_sub_f32_e32 v20, v34, v22
	v_sub_f32_e32 v22, v35, v16
	v_dual_sub_f32 v16, v24, v58 :: v_dual_sub_f32 v23, v42, v17
	s_delay_alu instid0(VALU_DEP_4)
	v_sub_f32_e32 v30, v45, v13
	v_sub_f32_e32 v21, v15, v57
	;; [unrolled: 1-line block ×3, first 2 shown]
	v_dual_sub_f32 v18, v28, v61 :: v_dual_and_b32 v69, 3, v7
	v_sub_f32_e32 v27, v29, v62
	v_fma_f32 v13, v14, 2.0, -v19
	v_fma_f32 v31, v34, 2.0, -v20
	;; [unrolled: 1-line block ×12, first 2 shown]
	ds_store_2addr_b32 v48, v13, v19 offset1:2
	ds_store_2addr_b32 v50, v14, v21 offset1:2
	;; [unrolled: 1-line block ×6, first 2 shown]
	global_wb scope:SCOPE_SE
	s_wait_dscnt 0x0
	s_barrier_signal -1
	s_barrier_wait -1
	global_inv scope:SCOPE_SE
	ds_load_2addr_b32 v[17:18], v1 offset1:117
	ds_load_2addr_b32 v[13:14], v11 offset0:84 offset1:201
	ds_load_2addr_b32 v[27:28], v49 offset0:40 offset1:157
	;; [unrolled: 1-line block ×5, first 2 shown]
	global_wb scope:SCOPE_SE
	s_wait_dscnt 0x0
	s_barrier_signal -1
	s_barrier_wait -1
	global_inv scope:SCOPE_SE
	ds_store_2addr_b32 v48, v31, v20 offset1:2
	ds_store_2addr_b32 v50, v32, v22 offset1:2
	ds_store_2addr_b32 v51, v24, v23 offset1:2
	ds_store_2addr_b32 v52, v33, v26 offset1:2
	ds_store_2addr_b32 v53, v34, v12 offset1:2
	ds_store_2addr_b32 v36, v35, v30 offset1:2
	v_and_b32_e32 v12, 3, v9
	v_lshlrev_b32_e32 v19, 4, v69
	global_wb scope:SCOPE_SE
	s_wait_dscnt 0x0
	s_barrier_signal -1
	s_barrier_wait -1
	v_lshlrev_b32_e32 v20, 4, v12
	global_inv scope:SCOPE_SE
	s_clause 0x3
	global_load_b128 v[23:26], v47, s[4:5] offset:16
	global_load_b128 v[50:53], v54, s[4:5] offset:16
	;; [unrolled: 1-line block ×4, first 2 shown]
	v_lshrrev_b32_e32 v19, 2, v0
	v_lshrrev_b32_e32 v20, 2, v37
	;; [unrolled: 1-line block ×3, first 2 shown]
	ds_load_2addr_b32 v[47:48], v11 offset0:84 offset1:201
	ds_load_2addr_b32 v[64:65], v49 offset0:40 offset1:157
	v_mul_u32_u24_e32 v19, 12, v19
	v_mul_u32_u24_e32 v20, 12, v20
	;; [unrolled: 1-line block ×3, first 2 shown]
	v_lshrrev_b32_e32 v35, 2, v9
	s_delay_alu instid0(VALU_DEP_4) | instskip(NEXT) | instid1(VALU_DEP_4)
	v_or_b32_e32 v19, v19, v66
	v_or_b32_e32 v20, v20, v67
	s_delay_alu instid0(VALU_DEP_4)
	v_or_b32_e32 v21, v21, v69
	ds_load_2addr_b32 v[66:67], v46 offset0:62 offset1:179
	ds_load_2addr_b32 v[68:69], v68 offset0:18 offset1:135
	v_mul_u32_u24_e32 v22, 12, v35
	v_lshl_add_u32 v40, v19, 2, 0
	v_lshl_add_u32 v41, v20, 2, 0
	;; [unrolled: 1-line block ×3, first 2 shown]
	s_delay_alu instid0(VALU_DEP_4)
	v_or_b32_e32 v12, v22, v12
	ds_load_2addr_b32 v[21:22], v1 offset1:117
	ds_load_2addr_b32 v[19:20], v5 offset0:106 offset1:223
	global_wb scope:SCOPE_SE
	s_wait_loadcnt_dscnt 0x0
	s_barrier_signal -1
	s_barrier_wait -1
	v_lshl_add_u32 v38, v12, 2, 0
	global_inv scope:SCOPE_SE
	v_dual_mul_f32 v29, v47, v24 :: v_dual_mul_f32 v30, v65, v53
	v_mul_f32_e32 v46, v64, v26
	v_mul_f32_e32 v12, v48, v51
	v_dual_mul_f32 v31, v14, v51 :: v_dual_mul_f32 v34, v68, v57
	v_dual_mul_f32 v45, v28, v53 :: v_dual_mul_f32 v32, v66, v55
	s_delay_alu instid0(VALU_DEP_3) | instskip(SKIP_1) | instid1(VALU_DEP_4)
	v_dual_fmac_f32 v12, v14, v50 :: v_dual_mul_f32 v49, v43, v55
	v_dual_mul_f32 v42, v69, v61 :: v_dual_mul_f32 v33, v67, v59
	v_fmac_f32_e32 v34, v62, v56
	v_mul_f32_e32 v24, v13, v24
	v_dual_mul_f32 v26, v27, v26 :: v_dual_mul_f32 v53, v62, v57
	v_fmac_f32_e32 v30, v28, v52
	v_dual_mul_f32 v55, v44, v59 :: v_dual_fmac_f32 v46, v27, v25
	v_dual_fmac_f32 v29, v13, v23 :: v_dual_fmac_f32 v32, v43, v54
	v_mul_f32_e32 v57, v63, v61
	v_fma_f32 v50, v48, v50, -v31
	v_fma_f32 v48, v65, v52, -v45
	s_delay_alu instid0(VALU_DEP_4)
	v_add_f32_e32 v14, v29, v46
	v_dual_fmac_f32 v33, v44, v58 :: v_dual_fmac_f32 v42, v63, v60
	v_fma_f32 v51, v47, v23, -v24
	v_fma_f32 v47, v64, v25, -v26
	;; [unrolled: 1-line block ×6, first 2 shown]
	v_dual_add_f32 v13, v17, v29 :: v_dual_sub_f32 v26, v51, v47
	v_dual_add_f32 v23, v18, v12 :: v_dual_add_f32 v24, v12, v30
	v_dual_sub_f32 v49, v50, v48 :: v_dual_add_f32 v52, v32, v34
	v_add_f32_e32 v55, v33, v42
	v_dual_add_f32 v25, v15, v32 :: v_dual_add_f32 v54, v16, v33
	v_dual_sub_f32 v53, v31, v43 :: v_dual_sub_f32 v56, v45, v44
	v_fma_f32 v27, -0.5, v14, v17
	v_dual_fmac_f32 v18, -0.5, v24 :: v_dual_add_f32 v13, v13, v46
	v_fmac_f32_e32 v16, -0.5, v55
	v_add_f32_e32 v28, v23, v30
	v_fma_f32 v23, -0.5, v52, v15
	s_delay_alu instid0(VALU_DEP_4)
	v_fmamk_f32 v17, v49, 0xbf5db3d7, v18
	v_dual_add_f32 v25, v25, v34 :: v_dual_fmamk_f32 v14, v26, 0xbf5db3d7, v27
	v_add_f32_e32 v24, v54, v42
	v_dual_fmac_f32 v27, 0x3f5db3d7, v26 :: v_dual_fmac_f32 v18, 0x3f5db3d7, v49
	v_dual_fmamk_f32 v26, v53, 0xbf5db3d7, v23 :: v_dual_fmamk_f32 v15, v56, 0xbf5db3d7, v16
	v_dual_fmac_f32 v23, 0x3f5db3d7, v53 :: v_dual_fmac_f32 v16, 0x3f5db3d7, v56
	ds_store_2addr_b32 v40, v13, v14 offset1:4
	ds_store_b32 v40, v27 offset:32
	ds_store_2addr_b32 v41, v28, v17 offset1:4
	ds_store_b32 v41, v18 offset:32
	;; [unrolled: 2-line block ×4, first 2 shown]
	global_wb scope:SCOPE_SE
	s_wait_dscnt 0x0
	s_barrier_signal -1
	s_barrier_wait -1
	global_inv scope:SCOPE_SE
                                        ; implicit-def: $vgpr49
	s_and_saveexec_b32 s1, s0
	s_cbranch_execz .LBB0_13
; %bb.12:
	v_add_nc_u32_e32 v15, 0x800, v1
	v_add_nc_u32_e32 v16, 0xc00, v1
	v_add_nc_u32_e32 v49, 0x1000, v1
	ds_load_2addr_b32 v[13:14], v1 offset1:108
	ds_load_2addr_b32 v[27:28], v5 offset0:88 offset1:196
	ds_load_2addr_b32 v[17:18], v11 offset0:48 offset1:156
	;; [unrolled: 1-line block ×5, first 2 shown]
	ds_load_b32 v49, v1 offset:5184
.LBB0_13:
	s_wait_alu 0xfffe
	s_or_b32 exec_lo, exec_lo, s1
	v_dual_add_f32 v5, v51, v47 :: v_dual_sub_f32 v46, v29, v46
	v_add_f32_e32 v11, v21, v51
	v_add_f32_e32 v51, v50, v48
	global_wb scope:SCOPE_SE
	s_wait_dscnt 0x0
	v_fma_f32 v29, -0.5, v5, v21
	v_add_f32_e32 v5, v22, v50
	v_sub_f32_e32 v50, v12, v30
	v_fmac_f32_e32 v22, -0.5, v51
	s_delay_alu instid0(VALU_DEP_4) | instskip(NEXT) | instid1(VALU_DEP_4)
	v_dual_add_f32 v11, v11, v47 :: v_dual_fmamk_f32 v12, v46, 0x3f5db3d7, v29
	v_dual_fmac_f32 v29, 0xbf5db3d7, v46 :: v_dual_add_f32 v30, v5, v48
	v_dual_add_f32 v5, v31, v43 :: v_dual_add_f32 v46, v45, v44
	s_delay_alu instid0(VALU_DEP_4) | instskip(SKIP_1) | instid1(VALU_DEP_3)
	v_dual_fmamk_f32 v21, v50, 0x3f5db3d7, v22 :: v_dual_sub_f32 v42, v33, v42
	v_add_f32_e32 v47, v19, v31
	v_fma_f32 v31, -0.5, v5, v19
	v_add_f32_e32 v19, v20, v45
	v_sub_f32_e32 v5, v32, v34
	v_fmac_f32_e32 v20, -0.5, v46
	v_dual_fmac_f32 v22, 0xbf5db3d7, v50 :: v_dual_add_f32 v33, v47, v43
	s_delay_alu instid0(VALU_DEP_4) | instskip(NEXT) | instid1(VALU_DEP_4)
	v_add_f32_e32 v32, v19, v44
	v_fmamk_f32 v34, v5, 0x3f5db3d7, v31
	v_fmac_f32_e32 v31, 0xbf5db3d7, v5
	v_fmamk_f32 v19, v42, 0x3f5db3d7, v20
	v_fmac_f32_e32 v20, 0xbf5db3d7, v42
	s_barrier_signal -1
	s_barrier_wait -1
	global_inv scope:SCOPE_SE
	ds_store_2addr_b32 v40, v11, v12 offset1:4
	ds_store_b32 v40, v29 offset:32
	ds_store_2addr_b32 v41, v30, v21 offset1:4
	ds_store_b32 v41, v22 offset:32
	;; [unrolled: 2-line block ×4, first 2 shown]
	global_wb scope:SCOPE_SE
	s_wait_dscnt 0x0
	s_barrier_signal -1
	s_barrier_wait -1
	global_inv scope:SCOPE_SE
                                        ; implicit-def: $vgpr57
	s_and_saveexec_b32 s1, s0
	s_cbranch_execz .LBB0_15
; %bb.14:
	v_add_nc_u32_e32 v5, 0x200, v1
	v_add_nc_u32_e32 v19, 0x600, v1
	;; [unrolled: 1-line block ×5, first 2 shown]
	ds_load_2addr_b32 v[11:12], v1 offset1:108
	ds_load_2addr_b32 v[29:30], v5 offset0:88 offset1:196
	ds_load_2addr_b32 v[21:22], v19 offset0:48 offset1:156
	;; [unrolled: 1-line block ×5, first 2 shown]
	ds_load_b32 v57, v1 offset:5184
.LBB0_15:
	s_wait_alu 0xfffe
	s_or_b32 exec_lo, exec_lo, s1
	v_and_b32_e32 v5, 0xff, v0
	s_delay_alu instid0(VALU_DEP_1) | instskip(NEXT) | instid1(VALU_DEP_1)
	v_mul_lo_u16 v5, 0xab, v5
	v_lshrrev_b16 v5, 11, v5
	s_delay_alu instid0(VALU_DEP_1) | instskip(NEXT) | instid1(VALU_DEP_1)
	v_mul_lo_u16 v38, v5, 12
	v_sub_nc_u16 v38, v0, v38
	s_delay_alu instid0(VALU_DEP_1) | instskip(NEXT) | instid1(VALU_DEP_1)
	v_and_b32_e32 v82, 0xff, v38
	v_mul_u32_u24_e32 v38, 12, v82
	s_delay_alu instid0(VALU_DEP_1)
	v_lshlrev_b32_e32 v38, 3, v38
	s_clause 0x5
	global_load_b128 v[58:61], v38, s[4:5] offset:80
	global_load_b128 v[62:65], v38, s[4:5] offset:96
	;; [unrolled: 1-line block ×6, first 2 shown]
	v_and_b32_e32 v5, 0xffff, v5
	global_wb scope:SCOPE_SE
	s_wait_loadcnt_dscnt 0x0
	s_barrier_signal -1
	s_barrier_wait -1
	global_inv scope:SCOPE_SE
	v_mul_f32_e32 v42, v14, v59
	v_dual_mul_f32 v54, v12, v59 :: v_dual_mul_f32 v51, v29, v61
	v_dual_mul_f32 v45, v27, v61 :: v_dual_mul_f32 v46, v30, v63
	;; [unrolled: 1-line block ×3, first 2 shown]
	v_mul_f32_e32 v61, v25, v69
	v_dual_mul_f32 v50, v17, v65 :: v_dual_mul_f32 v59, v18, v67
	v_dual_mul_f32 v40, v22, v67 :: v_dual_mul_f32 v41, v31, v73
	;; [unrolled: 1-line block ×3, first 2 shown]
	v_dual_mul_f32 v63, v26, v71 :: v_dual_fmac_f32 v46, v28, v62
	v_dual_mul_f32 v65, v23, v73 :: v_dual_mul_f32 v44, v32, v75
	v_dual_mul_f32 v67, v24, v75 :: v_dual_fmac_f32 v54, v14, v58
	v_dual_mul_f32 v47, v19, v77 :: v_dual_mul_f32 v52, v20, v79
	v_dual_mul_f32 v69, v15, v77 :: v_dual_fmac_f32 v40, v18, v66
	v_dual_mul_f32 v71, v16, v79 :: v_dual_fmac_f32 v38, v25, v68
	;; [unrolled: 1-line block ×3, first 2 shown]
	s_delay_alu instid0(VALU_DEP_4)
	v_dual_mul_f32 v73, v49, v81 :: v_dual_fmac_f32 v52, v16, v78
	v_fma_f32 v56, v12, v58, -v42
	v_dual_fmac_f32 v51, v27, v60 :: v_dual_lshlrev_b32 v24, 2, v82
	v_fma_f32 v53, v29, v60, -v45
	v_fma_f32 v48, v30, v62, -v48
	v_fmac_f32_e32 v43, v17, v64
	v_fma_f32 v45, v21, v64, -v50
	v_fma_f32 v42, v22, v66, -v59
	;; [unrolled: 1-line block ×3, first 2 shown]
	v_fmac_f32_e32 v39, v26, v70
	v_fma_f32 v26, v34, v70, -v63
	v_fmac_f32_e32 v41, v23, v72
	v_fma_f32 v33, v31, v72, -v65
	v_fma_f32 v32, v32, v74, -v67
	v_fmac_f32_e32 v47, v15, v76
	v_fma_f32 v34, v19, v76, -v69
	;; [unrolled: 3-line block ×3, first 2 shown]
	s_and_saveexec_b32 s1, s0
	s_cbranch_execz .LBB0_17
; %bb.16:
	s_delay_alu instid0(VALU_DEP_1) | instskip(SKIP_2) | instid1(VALU_DEP_3)
	v_dual_sub_f32 v12, v56, v49 :: v_dual_add_f32 v15, v51, v52
	v_dual_add_f32 v14, v54, v55 :: v_dual_sub_f32 v19, v48, v34
	v_dual_sub_f32 v16, v53, v50 :: v_dual_add_f32 v17, v46, v47
	v_dual_mul_f32 v18, 0xbe750f2a, v12 :: v_dual_add_f32 v27, v40, v41
	s_delay_alu instid0(VALU_DEP_3) | instskip(SKIP_1) | instid1(VALU_DEP_3)
	v_dual_add_f32 v20, v43, v44 :: v_dual_mul_f32 v29, 0xbf29c268, v19
	v_dual_sub_f32 v21, v45, v32 :: v_dual_sub_f32 v28, v42, v33
	v_fma_f32 v23, 0xbf788fa5, v14, -v18
	v_dual_mul_f32 v22, 0x3eedf032, v16 :: v_dual_add_f32 v31, v38, v39
	s_delay_alu instid0(VALU_DEP_3) | instskip(SKIP_1) | instid1(VALU_DEP_4)
	v_mul_f32_e32 v58, 0x3f52af12, v21
	v_fma_f32 v59, 0xbf3f9e67, v17, -v29
	v_add_f32_e32 v23, v13, v23
	s_delay_alu instid0(VALU_DEP_4) | instskip(SKIP_3) | instid1(VALU_DEP_4)
	v_fma_f32 v30, 0x3f62ad3f, v15, -v22
	v_sub_f32_e32 v57, v25, v26
	v_fmac_f32_e32 v18, 0xbf788fa5, v14
	v_fma_f32 v60, 0x3f116cb1, v20, -v58
	v_dual_fmac_f32 v58, 0x3f116cb1, v20 :: v_dual_add_f32 v23, v30, v23
	v_mul_f32_e32 v30, 0xbf6f5d39, v28
	s_delay_alu instid0(VALU_DEP_4) | instskip(NEXT) | instid1(VALU_DEP_3)
	v_dual_add_f32 v18, v13, v18 :: v_dual_fmac_f32 v29, 0xbf3f9e67, v17
	v_dual_mul_f32 v66, 0xbe750f2a, v16 :: v_dual_add_f32 v23, v59, v23
	v_mul_f32_e32 v59, 0xbf29c268, v12
	s_delay_alu instid0(VALU_DEP_4)
	v_fma_f32 v61, 0xbeb58ec6, v27, -v30
	v_mul_f32_e32 v68, 0xbe750f2a, v19
	v_mul_f32_e32 v69, 0x3f7e222b, v28
	v_add_f32_e32 v23, v60, v23
	v_fma_f32 v60, 0xbf3f9e67, v14, -v59
	v_fmac_f32_e32 v22, 0x3f62ad3f, v15
	s_delay_alu instid0(VALU_DEP_1) | instskip(SKIP_2) | instid1(VALU_DEP_3)
	v_add_f32_e32 v18, v22, v18
	v_mul_f32_e32 v22, 0x3f7e222b, v57
	v_dual_mul_f32 v62, 0x3f7e222b, v16 :: v_dual_add_f32 v23, v61, v23
	v_dual_mul_f32 v61, 0xbf52af12, v19 :: v_dual_add_f32 v18, v29, v18
	v_add_f32_e32 v29, v13, v60
	s_delay_alu instid0(VALU_DEP_3) | instskip(SKIP_2) | instid1(VALU_DEP_3)
	v_fma_f32 v60, 0x3df6dbef, v15, -v62
	v_fma_f32 v63, 0x3df6dbef, v31, -v22
	v_fmac_f32_e32 v59, 0xbf3f9e67, v14
	v_dual_add_f32 v29, v60, v29 :: v_dual_add_f32 v18, v58, v18
	v_fma_f32 v58, 0x3f116cb1, v17, -v61
	v_fmac_f32_e32 v30, 0xbeb58ec6, v27
	v_dual_mul_f32 v60, 0x3e750f2a, v21 :: v_dual_add_f32 v23, v63, v23
	v_add_f32_e32 v59, v13, v59
	s_delay_alu instid0(VALU_DEP_4) | instskip(NEXT) | instid1(VALU_DEP_4)
	v_add_f32_e32 v29, v58, v29
	v_add_f32_e32 v18, v30, v18
	s_delay_alu instid0(VALU_DEP_4) | instskip(SKIP_2) | instid1(VALU_DEP_3)
	v_fma_f32 v30, 0xbf788fa5, v20, -v60
	v_mul_f32_e32 v58, 0x3eedf032, v28
	v_fmac_f32_e32 v61, 0x3f116cb1, v17
	v_dual_fmac_f32 v60, 0xbf788fa5, v20 :: v_dual_add_f32 v29, v30, v29
	s_delay_alu instid0(VALU_DEP_3) | instskip(NEXT) | instid1(VALU_DEP_1)
	v_fma_f32 v30, 0x3f62ad3f, v27, -v58
	v_dual_fmac_f32 v22, 0x3df6dbef, v31 :: v_dual_add_f32 v29, v30, v29
	v_fmac_f32_e32 v62, 0x3df6dbef, v15
	s_delay_alu instid0(VALU_DEP_2) | instskip(NEXT) | instid1(VALU_DEP_2)
	v_add_f32_e32 v18, v22, v18
	v_dual_mul_f32 v22, 0xbf6f5d39, v12 :: v_dual_add_f32 v59, v62, v59
	v_mul_f32_e32 v30, 0xbf6f5d39, v57
	s_delay_alu instid0(VALU_DEP_2) | instskip(SKIP_1) | instid1(VALU_DEP_4)
	v_fma_f32 v62, 0xbeb58ec6, v14, -v22
	v_mul_f32_e32 v63, 0x3f29c268, v16
	v_dual_fmac_f32 v22, 0xbeb58ec6, v14 :: v_dual_add_f32 v59, v61, v59
	s_delay_alu instid0(VALU_DEP_4) | instskip(NEXT) | instid1(VALU_DEP_4)
	v_fma_f32 v61, 0xbeb58ec6, v31, -v30
	v_add_f32_e32 v62, v13, v62
	s_delay_alu instid0(VALU_DEP_4)
	v_fma_f32 v64, 0xbf3f9e67, v15, -v63
	v_mul_f32_e32 v65, 0x3eedf032, v19
	v_add_f32_e32 v59, v60, v59
	v_add_f32_e32 v29, v61, v29
	v_dual_add_f32 v22, v13, v22 :: v_dual_fmac_f32 v63, 0xbf3f9e67, v15
	v_add_f32_e32 v60, v64, v62
	v_fma_f32 v61, 0x3f62ad3f, v17, -v65
	v_fmac_f32_e32 v58, 0x3f62ad3f, v27
	v_mul_f32_e32 v64, 0xbf7e222b, v12
	v_mul_f32_e32 v62, 0xbf7e222b, v21
	v_dual_add_f32 v22, v63, v22 :: v_dual_fmac_f32 v65, 0x3f62ad3f, v17
	s_delay_alu instid0(VALU_DEP_4) | instskip(NEXT) | instid1(VALU_DEP_4)
	v_add_f32_e32 v58, v58, v59
	v_fma_f32 v63, 0x3df6dbef, v14, -v64
	v_fmac_f32_e32 v64, 0x3df6dbef, v14
	v_dual_fmac_f32 v30, 0xbeb58ec6, v31 :: v_dual_add_f32 v59, v61, v60
	v_mul_f32_e32 v61, 0x3e750f2a, v28
	v_fma_f32 v60, 0x3df6dbef, v20, -v62
	v_add_f32_e32 v22, v65, v22
	s_delay_alu instid0(VALU_DEP_4) | instskip(SKIP_4) | instid1(VALU_DEP_4)
	v_add_f32_e32 v30, v30, v58
	v_fmac_f32_e32 v62, 0x3df6dbef, v20
	v_mul_f32_e32 v65, 0x3f6f5d39, v19
	v_add_f32_e32 v58, v60, v59
	v_fma_f32 v59, 0xbf788fa5, v27, -v61
	v_dual_fmac_f32 v61, 0xbf788fa5, v27 :: v_dual_add_f32 v22, v62, v22
	s_delay_alu instid0(VALU_DEP_4) | instskip(SKIP_1) | instid1(VALU_DEP_4)
	v_fma_f32 v62, 0xbeb58ec6, v17, -v65
	v_mul_f32_e32 v60, 0x3f52af12, v57
	v_dual_add_f32 v58, v59, v58 :: v_dual_fmac_f32 v65, 0xbeb58ec6, v17
	s_delay_alu instid0(VALU_DEP_4) | instskip(SKIP_1) | instid1(VALU_DEP_4)
	v_add_f32_e32 v22, v61, v22
	v_add_f32_e32 v61, v13, v64
	v_fma_f32 v59, 0x3f116cb1, v31, -v60
	v_mul_f32_e32 v64, 0xbf52af12, v28
	s_delay_alu instid0(VALU_DEP_2) | instskip(SKIP_2) | instid1(VALU_DEP_1)
	v_dual_mul_f32 v19, 0xbf7e222b, v19 :: v_dual_add_f32 v58, v59, v58
	v_add_f32_e32 v59, v13, v63
	v_fma_f32 v63, 0xbf788fa5, v15, -v66
	v_add_f32_e32 v59, v63, v59
	v_mul_f32_e32 v63, 0x3eedf032, v21
	s_delay_alu instid0(VALU_DEP_2) | instskip(NEXT) | instid1(VALU_DEP_2)
	v_add_f32_e32 v59, v62, v59
	v_fma_f32 v62, 0x3f62ad3f, v20, -v63
	v_fmac_f32_e32 v63, 0x3f62ad3f, v20
	v_fmac_f32_e32 v60, 0x3f116cb1, v31
	s_delay_alu instid0(VALU_DEP_3) | instskip(SKIP_2) | instid1(VALU_DEP_2)
	v_add_f32_e32 v59, v62, v59
	v_fmac_f32_e32 v66, 0xbf788fa5, v15
	v_fma_f32 v62, 0x3f116cb1, v27, -v64
	v_dual_fmac_f32 v64, 0x3f116cb1, v27 :: v_dual_add_f32 v61, v66, v61
	s_delay_alu instid0(VALU_DEP_2) | instskip(SKIP_1) | instid1(VALU_DEP_3)
	v_dual_mul_f32 v66, 0xbf6f5d39, v16 :: v_dual_add_f32 v59, v62, v59
	v_mul_f32_e32 v62, 0xbf29c268, v57
	v_dual_mul_f32 v16, 0xbf52af12, v16 :: v_dual_add_f32 v61, v65, v61
	s_delay_alu instid0(VALU_DEP_3) | instskip(NEXT) | instid1(VALU_DEP_2)
	v_fma_f32 v67, 0xbeb58ec6, v15, -v66
	v_add_f32_e32 v61, v63, v61
	s_delay_alu instid0(VALU_DEP_4) | instskip(NEXT) | instid1(VALU_DEP_2)
	v_fma_f32 v63, 0xbf3f9e67, v31, -v62
	v_dual_fmac_f32 v62, 0xbf3f9e67, v31 :: v_dual_add_f32 v61, v64, v61
	v_add_f32_e32 v22, v60, v22
	v_mul_f32_e32 v60, 0xbf52af12, v12
	s_delay_alu instid0(VALU_DEP_3) | instskip(NEXT) | instid1(VALU_DEP_2)
	v_dual_mul_f32 v12, 0xbeedf032, v12 :: v_dual_add_f32 v61, v62, v61
	v_fma_f32 v65, 0x3f116cb1, v14, -v60
	s_delay_alu instid0(VALU_DEP_1) | instskip(NEXT) | instid1(VALU_DEP_1)
	v_dual_fmac_f32 v60, 0x3f116cb1, v14 :: v_dual_add_f32 v65, v13, v65
	v_add_f32_e32 v60, v13, v60
	s_delay_alu instid0(VALU_DEP_2)
	v_add_f32_e32 v64, v67, v65
	v_fma_f32 v65, 0xbf788fa5, v17, -v68
	v_mul_f32_e32 v67, 0x3f29c268, v21
	v_mul_f32_e32 v21, 0xbf6f5d39, v21
	v_fmac_f32_e32 v66, 0xbeb58ec6, v15
	v_fmac_f32_e32 v68, 0xbf788fa5, v17
	v_add_f32_e32 v62, v65, v64
	v_fma_f32 v64, 0xbf3f9e67, v20, -v67
	v_add_f32_e32 v65, v13, v54
	s_delay_alu instid0(VALU_DEP_2) | instskip(NEXT) | instid1(VALU_DEP_2)
	v_dual_fmac_f32 v67, 0xbf3f9e67, v20 :: v_dual_add_f32 v62, v64, v62
	v_add_f32_e32 v64, v65, v51
	v_fma_f32 v65, 0x3df6dbef, v27, -v69
	v_dual_fmac_f32 v69, 0x3df6dbef, v27 :: v_dual_add_f32 v60, v66, v60
	v_mul_f32_e32 v66, 0x3eedf032, v57
	s_delay_alu instid0(VALU_DEP_4) | instskip(NEXT) | instid1(VALU_DEP_3)
	v_add_f32_e32 v64, v64, v46
	v_add_f32_e32 v60, v68, v60
	s_delay_alu instid0(VALU_DEP_2) | instskip(NEXT) | instid1(VALU_DEP_2)
	v_add_f32_e32 v64, v64, v43
	v_add_f32_e32 v60, v67, v60
	v_fma_f32 v67, 0x3f62ad3f, v14, -v12
	v_fmac_f32_e32 v12, 0x3f62ad3f, v14
	s_delay_alu instid0(VALU_DEP_4)
	v_add_f32_e32 v14, v64, v40
	v_fma_f32 v64, 0x3f116cb1, v15, -v16
	v_fmac_f32_e32 v16, 0x3f116cb1, v15
	v_fma_f32 v15, 0x3df6dbef, v17, -v19
	v_add_f32_e32 v12, v13, v12
	v_dual_add_f32 v14, v14, v38 :: v_dual_add_f32 v13, v13, v67
	v_fmac_f32_e32 v19, 0x3df6dbef, v17
	v_mul_f32_e32 v17, 0xbf29c268, v28
	s_delay_alu instid0(VALU_DEP_4) | instskip(NEXT) | instid1(VALU_DEP_4)
	v_add_f32_e32 v12, v16, v12
	v_dual_add_f32 v14, v14, v39 :: v_dual_add_f32 v13, v64, v13
	v_fma_f32 v16, 0xbeb58ec6, v20, -v21
	v_fmac_f32_e32 v21, 0xbeb58ec6, v20
	s_delay_alu instid0(VALU_DEP_4) | instskip(NEXT) | instid1(VALU_DEP_4)
	v_add_f32_e32 v12, v19, v12
	v_add_f32_e32 v14, v14, v41
	;; [unrolled: 1-line block ×3, first 2 shown]
	v_fma_f32 v15, 0xbf3f9e67, v27, -v17
	v_fmac_f32_e32 v17, 0xbf3f9e67, v27
	s_delay_alu instid0(VALU_DEP_4) | instskip(NEXT) | instid1(VALU_DEP_4)
	v_dual_mul_f32 v19, 0xbe750f2a, v57 :: v_dual_add_f32 v14, v14, v44
	v_dual_add_f32 v12, v21, v12 :: v_dual_add_f32 v13, v16, v13
	v_add_f32_e32 v20, v69, v60
	s_delay_alu instid0(VALU_DEP_3) | instskip(NEXT) | instid1(VALU_DEP_4)
	v_fma_f32 v16, 0xbf788fa5, v31, -v19
	v_add_f32_e32 v14, v14, v47
	s_delay_alu instid0(VALU_DEP_4) | instskip(SKIP_2) | instid1(VALU_DEP_4)
	v_dual_add_f32 v12, v17, v12 :: v_dual_fmac_f32 v19, 0xbf788fa5, v31
	v_mul_u32_u24_e32 v17, 0x270, v5
	v_add_f32_e32 v62, v65, v62
	v_dual_add_f32 v14, v14, v52 :: v_dual_add_f32 v13, v15, v13
	s_delay_alu instid0(VALU_DEP_4)
	v_add_f32_e32 v12, v19, v12
	v_add_f32_e32 v19, v63, v59
	v_fma_f32 v65, 0x3f62ad3f, v31, -v66
	v_fmac_f32_e32 v66, 0x3f62ad3f, v31
	v_add_f32_e32 v14, v14, v55
	v_add3_u32 v15, 0, v17, v24
	v_add_f32_e32 v13, v16, v13
	s_delay_alu instid0(VALU_DEP_4)
	v_dual_add_f32 v17, v66, v20 :: v_dual_add_f32 v20, v65, v62
	ds_store_2addr_b32 v15, v14, v12 offset1:12
	ds_store_2addr_b32 v15, v17, v61 offset0:24 offset1:36
	ds_store_2addr_b32 v15, v22, v30 offset0:48 offset1:60
	;; [unrolled: 1-line block ×5, first 2 shown]
	ds_store_b32 v15, v13 offset:576
.LBB0_17:
	s_wait_alu 0xfffe
	s_or_b32 exec_lo, exec_lo, s1
	v_add_nc_u32_e32 v27, 0x600, v1
	v_add_nc_u32_e32 v28, 0xe00, v1
	;; [unrolled: 1-line block ×5, first 2 shown]
	global_wb scope:SCOPE_SE
	s_wait_dscnt 0x0
	s_barrier_signal -1
	s_barrier_wait -1
	global_inv scope:SCOPE_SE
	ds_load_2addr_b32 v[14:15], v1 offset1:117
	ds_load_2addr_b32 v[22:23], v27 offset0:84 offset1:201
	ds_load_2addr_b32 v[20:21], v28 offset0:40 offset1:157
	;; [unrolled: 1-line block ×5, first 2 shown]
	global_wb scope:SCOPE_SE
	s_wait_dscnt 0x0
	s_barrier_signal -1
	s_barrier_wait -1
	global_inv scope:SCOPE_SE
	s_and_saveexec_b32 s1, s0
	s_cbranch_execz .LBB0_19
; %bb.18:
	v_dual_add_f32 v57, v11, v56 :: v_dual_add_f32 v56, v56, v49
	v_dual_sub_f32 v51, v51, v52 :: v_dual_sub_f32 v54, v54, v55
	v_add_f32_e32 v55, v53, v50
	s_delay_alu instid0(VALU_DEP_3) | instskip(SKIP_2) | instid1(VALU_DEP_4)
	v_dual_add_f32 v52, v57, v53 :: v_dual_mul_f32 v59, 0xbeb58ec6, v56
	v_sub_f32_e32 v38, v38, v39
	v_sub_f32_e32 v40, v40, v41
	v_mul_f32_e32 v62, 0xbeb58ec6, v55
	s_delay_alu instid0(VALU_DEP_4) | instskip(SKIP_1) | instid1(VALU_DEP_3)
	v_dual_add_f32 v52, v52, v48 :: v_dual_mul_f32 v61, 0x3f116cb1, v55
	v_mul_f32_e32 v53, 0x3f62ad3f, v56
	v_dual_fmamk_f32 v68, v54, 0x3f6f5d39, v59 :: v_dual_fmamk_f32 v71, v51, 0x3f6f5d39, v62
	s_delay_alu instid0(VALU_DEP_3) | instskip(SKIP_2) | instid1(VALU_DEP_3)
	v_dual_add_f32 v52, v52, v45 :: v_dual_mul_f32 v57, 0x3f116cb1, v56
	v_dual_fmac_f32 v59, 0xbf6f5d39, v54 :: v_dual_fmac_f32 v62, 0xbf6f5d39, v51
	v_mul_u32_u24_e32 v5, 0x270, v5
	v_dual_add_f32 v52, v52, v42 :: v_dual_fmamk_f32 v65, v54, 0x3eedf032, v53
	s_delay_alu instid0(VALU_DEP_3) | instskip(SKIP_1) | instid1(VALU_DEP_3)
	v_add_f32_e32 v59, v11, v59
	v_dual_mul_f32 v63, 0xbf788fa5, v55 :: v_dual_add_f32 v68, v11, v68
	v_add_f32_e32 v52, v52, v25
	s_delay_alu instid0(VALU_DEP_4) | instskip(SKIP_1) | instid1(VALU_DEP_3)
	v_dual_mul_f32 v58, 0x3df6dbef, v56 :: v_dual_add_f32 v65, v11, v65
	v_add3_u32 v5, 0, v5, v24
	v_dual_sub_f32 v43, v43, v44 :: v_dual_add_f32 v52, v52, v26
	s_delay_alu instid0(VALU_DEP_3) | instskip(SKIP_4) | instid1(VALU_DEP_4)
	v_fmamk_f32 v67, v54, 0x3f7e222b, v58
	v_fmac_f32_e32 v53, 0xbeedf032, v54
	v_fmamk_f32 v66, v54, 0x3f52af12, v57
	v_fmac_f32_e32 v58, 0xbf7e222b, v54
	v_dual_add_f32 v52, v52, v33 :: v_dual_fmac_f32 v57, 0xbf52af12, v54
	v_dual_mul_f32 v60, 0xbf3f9e67, v56 :: v_dual_add_f32 v53, v11, v53
	v_mul_f32_e32 v56, 0xbf788fa5, v56
	s_delay_alu instid0(VALU_DEP_3) | instskip(NEXT) | instid1(VALU_DEP_4)
	v_add_f32_e32 v52, v52, v32
	v_dual_mul_f32 v64, 0xbf3f9e67, v55 :: v_dual_add_f32 v57, v11, v57
	v_add_f32_e32 v67, v11, v67
	v_dual_fmamk_f32 v69, v54, 0x3f29c268, v60 :: v_dual_add_f32 v66, v11, v66
	s_delay_alu instid0(VALU_DEP_3) | instskip(NEXT) | instid1(VALU_DEP_2)
	v_dual_add_f32 v52, v52, v34 :: v_dual_add_f32 v57, v62, v57
	v_dual_fmac_f32 v60, 0xbf29c268, v54 :: v_dual_add_f32 v69, v11, v69
	v_fmamk_f32 v70, v54, 0x3e750f2a, v56
	v_fmac_f32_e32 v56, 0xbe750f2a, v54
	s_delay_alu instid0(VALU_DEP_4) | instskip(SKIP_4) | instid1(VALU_DEP_3)
	v_add_f32_e32 v50, v52, v50
	v_fmamk_f32 v54, v51, 0x3f52af12, v61
	v_dual_fmac_f32 v61, 0xbf52af12, v51 :: v_dual_add_f32 v58, v11, v58
	v_mul_f32_e32 v62, 0x3df6dbef, v55
	v_dual_mul_f32 v55, 0x3f62ad3f, v55 :: v_dual_add_f32 v34, v48, v34
	v_add_f32_e32 v53, v61, v53
	v_fmamk_f32 v61, v51, 0xbf29c268, v64
	v_fmac_f32_e32 v64, 0x3f29c268, v51
	v_add_f32_e32 v60, v11, v60
	v_add_f32_e32 v52, v11, v70
	v_add_f32_e32 v11, v11, v56
	v_add_f32_e32 v49, v50, v49
	v_dual_add_f32 v54, v54, v65 :: v_dual_add_f32 v59, v64, v59
	v_sub_f32_e32 v46, v46, v47
	v_fmamk_f32 v48, v51, 0xbf7e222b, v62
	v_fmac_f32_e32 v62, 0x3f7e222b, v51
	v_fmamk_f32 v56, v51, 0x3e750f2a, v63
	v_dual_fmac_f32 v63, 0xbe750f2a, v51 :: v_dual_add_f32 v50, v71, v66
	v_add_f32_e32 v61, v61, v68
	v_dual_add_f32 v32, v45, v32 :: v_dual_add_f32 v33, v42, v33
	s_delay_alu instid0(VALU_DEP_3)
	v_add_f32_e32 v58, v63, v58
	v_fmamk_f32 v63, v51, 0xbeedf032, v55
	v_mul_f32_e32 v47, 0x3df6dbef, v34
	v_fmac_f32_e32 v55, 0x3eedf032, v51
	v_dual_add_f32 v51, v62, v60 :: v_dual_add_f32 v56, v56, v67
	v_mul_f32_e32 v44, 0xbeb58ec6, v32
	s_delay_alu instid0(VALU_DEP_3) | instskip(SKIP_4) | instid1(VALU_DEP_4)
	v_dual_fmamk_f32 v60, v46, 0x3f7e222b, v47 :: v_dual_add_f32 v11, v55, v11
	v_dual_fmac_f32 v47, 0xbf7e222b, v46 :: v_dual_add_f32 v48, v48, v69
	v_mul_f32_e32 v62, 0xbf788fa5, v34
	v_mul_f32_e32 v41, 0xbf3f9e67, v33
	v_add_f32_e32 v25, v25, v26
	v_add_f32_e32 v47, v47, v53
	v_mul_f32_e32 v53, 0x3f62ad3f, v34
	v_fmamk_f32 v55, v46, 0x3e750f2a, v62
	v_fmac_f32_e32 v62, 0xbe750f2a, v46
	s_delay_alu instid0(VALU_DEP_2) | instskip(NEXT) | instid1(VALU_DEP_2)
	v_dual_mul_f32 v39, 0xbf788fa5, v25 :: v_dual_add_f32 v50, v55, v50
	v_add_f32_e32 v57, v62, v57
	v_fmamk_f32 v62, v46, 0xbeedf032, v53
	v_fmac_f32_e32 v53, 0x3eedf032, v46
	s_delay_alu instid0(VALU_DEP_1) | instskip(SKIP_1) | instid1(VALU_DEP_1)
	v_dual_add_f32 v53, v53, v59 :: v_dual_add_f32 v54, v60, v54
	v_mul_f32_e32 v60, 0xbeb58ec6, v34
	v_dual_add_f32 v52, v63, v52 :: v_dual_fmamk_f32 v55, v46, 0xbf6f5d39, v60
	s_delay_alu instid0(VALU_DEP_1) | instskip(SKIP_1) | instid1(VALU_DEP_2)
	v_dual_add_f32 v55, v55, v56 :: v_dual_mul_f32 v56, 0x3f116cb1, v34
	v_mul_f32_e32 v34, 0xbf3f9e67, v34
	v_fmamk_f32 v45, v46, 0x3f52af12, v56
	s_delay_alu instid0(VALU_DEP_1) | instskip(SKIP_1) | instid1(VALU_DEP_1)
	v_dual_add_f32 v45, v45, v48 :: v_dual_fmamk_f32 v48, v46, 0x3f29c268, v34
	v_fmac_f32_e32 v34, 0xbf29c268, v46
	v_dual_add_f32 v48, v48, v52 :: v_dual_add_f32 v11, v34, v11
	v_fmac_f32_e32 v56, 0xbf52af12, v46
	s_delay_alu instid0(VALU_DEP_1) | instskip(SKIP_3) | instid1(VALU_DEP_3)
	v_dual_add_f32 v51, v56, v51 :: v_dual_fmac_f32 v60, 0x3f6f5d39, v46
	v_fmamk_f32 v46, v43, 0x3f6f5d39, v44
	v_mul_f32_e32 v56, 0xbf3f9e67, v32
	v_fmac_f32_e32 v44, 0xbf6f5d39, v43
	v_add_f32_e32 v34, v46, v54
	s_delay_alu instid0(VALU_DEP_3) | instskip(NEXT) | instid1(VALU_DEP_3)
	v_fmamk_f32 v46, v43, 0xbf29c268, v56
	v_add_f32_e32 v44, v44, v47
	v_fmac_f32_e32 v56, 0x3f29c268, v43
	s_delay_alu instid0(VALU_DEP_3) | instskip(NEXT) | instid1(VALU_DEP_2)
	v_dual_mul_f32 v47, 0x3df6dbef, v32 :: v_dual_add_f32 v46, v46, v50
	v_add_f32_e32 v54, v56, v57
	s_delay_alu instid0(VALU_DEP_2) | instskip(SKIP_1) | instid1(VALU_DEP_1)
	v_fmamk_f32 v56, v43, 0x3f7e222b, v47
	v_fmac_f32_e32 v47, 0xbf7e222b, v43
	v_dual_mul_f32 v52, 0x3f62ad3f, v32 :: v_dual_add_f32 v47, v47, v53
	s_delay_alu instid0(VALU_DEP_1) | instskip(SKIP_2) | instid1(VALU_DEP_3)
	v_fmamk_f32 v50, v43, 0xbeedf032, v52
	v_add_f32_e32 v58, v60, v58
	v_fmac_f32_e32 v52, 0x3eedf032, v43
	v_dual_add_f32 v50, v50, v55 :: v_dual_mul_f32 v55, 0xbf788fa5, v32
	v_mul_f32_e32 v32, 0x3f116cb1, v32
	s_delay_alu instid0(VALU_DEP_3) | instskip(NEXT) | instid1(VALU_DEP_3)
	v_add_f32_e32 v52, v52, v58
	v_fmamk_f32 v42, v43, 0xbe750f2a, v55
	v_fmac_f32_e32 v55, 0x3e750f2a, v43
	s_delay_alu instid0(VALU_DEP_4) | instskip(SKIP_1) | instid1(VALU_DEP_2)
	v_fmamk_f32 v53, v43, 0xbf52af12, v32
	v_fmac_f32_e32 v32, 0x3f52af12, v43
	v_dual_fmamk_f32 v43, v40, 0x3f29c268, v41 :: v_dual_add_f32 v48, v53, v48
	s_delay_alu instid0(VALU_DEP_1) | instskip(SKIP_3) | instid1(VALU_DEP_3)
	v_dual_add_f32 v11, v32, v11 :: v_dual_add_f32 v32, v43, v34
	v_mul_f32_e32 v34, 0x3f116cb1, v33
	v_dual_add_f32 v42, v42, v45 :: v_dual_add_f32 v45, v55, v51
	v_mul_f32_e32 v51, 0x3df6dbef, v33
	v_dual_add_f32 v60, v62, v61 :: v_dual_fmamk_f32 v53, v40, 0x3f52af12, v34
	v_fmac_f32_e32 v34, 0xbf52af12, v40
	s_delay_alu instid0(VALU_DEP_1) | instskip(SKIP_1) | instid1(VALU_DEP_1)
	v_add_f32_e32 v34, v34, v52
	v_mul_f32_e32 v52, 0x3f62ad3f, v33
	v_fmamk_f32 v26, v40, 0xbeedf032, v52
	v_fmac_f32_e32 v52, 0x3eedf032, v40
	s_delay_alu instid0(VALU_DEP_2) | instskip(NEXT) | instid1(VALU_DEP_2)
	v_add_f32_e32 v26, v26, v42
	v_dual_add_f32 v42, v52, v45 :: v_dual_fmamk_f32 v45, v38, 0x3e750f2a, v39
	v_fmac_f32_e32 v41, 0xbf29c268, v40
	v_fmamk_f32 v43, v40, 0xbf7e222b, v51
	v_dual_fmac_f32 v51, 0x3f7e222b, v40 :: v_dual_add_f32 v50, v53, v50
	s_delay_alu instid0(VALU_DEP_4) | instskip(NEXT) | instid1(VALU_DEP_4)
	v_add_f32_e32 v32, v45, v32
	v_dual_add_f32 v41, v41, v44 :: v_dual_mul_f32 v44, 0xbf788fa5, v33
	s_delay_alu instid0(VALU_DEP_4) | instskip(NEXT) | instid1(VALU_DEP_4)
	v_add_f32_e32 v43, v43, v46
	v_dual_mul_f32 v33, 0xbeb58ec6, v33 :: v_dual_add_f32 v46, v51, v54
	v_fmac_f32_e32 v39, 0xbe750f2a, v38
	s_delay_alu instid0(VALU_DEP_4) | instskip(NEXT) | instid1(VALU_DEP_2)
	v_fmamk_f32 v51, v40, 0xbe750f2a, v44
	v_dual_fmac_f32 v44, 0x3e750f2a, v40 :: v_dual_add_f32 v39, v39, v41
	s_delay_alu instid0(VALU_DEP_1) | instskip(SKIP_2) | instid1(VALU_DEP_2)
	v_add_f32_e32 v44, v44, v47
	v_fmamk_f32 v47, v40, 0x3f6f5d39, v33
	v_fmac_f32_e32 v33, 0xbf6f5d39, v40
	v_dual_add_f32 v40, v47, v48 :: v_dual_mul_f32 v47, 0x3f62ad3f, v25
	s_delay_alu instid0(VALU_DEP_2) | instskip(SKIP_2) | instid1(VALU_DEP_4)
	v_add_f32_e32 v11, v33, v11
	v_mul_f32_e32 v33, 0xbf3f9e67, v25
	v_mul_f32_e32 v48, 0x3f116cb1, v25
	v_fmamk_f32 v45, v38, 0xbeedf032, v47
	s_delay_alu instid0(VALU_DEP_3) | instskip(SKIP_1) | instid1(VALU_DEP_3)
	v_fmamk_f32 v41, v38, 0x3f29c268, v33
	v_fmac_f32_e32 v33, 0xbf29c268, v38
	v_dual_add_f32 v43, v45, v43 :: v_dual_add_f32 v56, v56, v60
	s_delay_alu instid0(VALU_DEP_3) | instskip(NEXT) | instid1(VALU_DEP_3)
	v_add_f32_e32 v41, v41, v50
	v_dual_add_f32 v33, v33, v34 :: v_dual_mul_f32 v34, 0xbeb58ec6, v25
	v_mul_f32_e32 v25, 0x3df6dbef, v25
	v_fmac_f32_e32 v47, 0x3eedf032, v38
	v_add_f32_e32 v51, v51, v56
	s_delay_alu instid0(VALU_DEP_2) | instskip(SKIP_3) | instid1(VALU_DEP_4)
	v_dual_add_f32 v45, v47, v46 :: v_dual_fmamk_f32 v46, v38, 0xbf52af12, v48
	v_fmac_f32_e32 v48, 0x3f52af12, v38
	v_fmamk_f32 v47, v38, 0x3f6f5d39, v34
	v_fmac_f32_e32 v34, 0xbf6f5d39, v38
	v_add_f32_e32 v46, v46, v51
	s_delay_alu instid0(VALU_DEP_4) | instskip(SKIP_3) | instid1(VALU_DEP_2)
	v_add_f32_e32 v44, v48, v44
	v_fmamk_f32 v48, v38, 0xbf7e222b, v25
	v_fmac_f32_e32 v25, 0x3f7e222b, v38
	v_add_f32_e32 v24, v47, v26
	v_dual_add_f32 v26, v48, v40 :: v_dual_add_f32 v11, v25, v11
	v_add_f32_e32 v25, v34, v42
	ds_store_2addr_b32 v5, v49, v32 offset1:12
	ds_store_2addr_b32 v5, v43, v41 offset0:24 offset1:36
	ds_store_2addr_b32 v5, v46, v24 offset0:48 offset1:60
	;; [unrolled: 1-line block ×5, first 2 shown]
	ds_store_b32 v5, v39 offset:576
.LBB0_19:
	s_wait_alu 0xfffe
	s_or_b32 exec_lo, exec_lo, s1
	v_subrev_nc_u32_e32 v11, 39, v0
	v_cmp_gt_u32_e64 s0, 39, v0
	v_lshrrev_b16 v26, 2, v7
	global_wb scope:SCOPE_SE
	s_wait_dscnt 0x0
	s_barrier_signal -1
	s_barrier_wait -1
	s_wait_alu 0xf1ff
	v_cndmask_b32_e64 v11, v11, v37, s0
	v_mov_b32_e32 v5, 0
	global_inv scope:SCOPE_SE
	v_lshlrev_b64_e32 v[24:25], 3, v[4:5]
	v_lshlrev_b32_e32 v4, 1, v11
	s_delay_alu instid0(VALU_DEP_1) | instskip(NEXT) | instid1(VALU_DEP_3)
	v_lshlrev_b64_e32 v[32:33], 3, v[4:5]
	v_add_co_u32 v24, s0, s4, v24
	s_wait_alu 0xf1ff
	s_delay_alu instid0(VALU_DEP_4) | instskip(SKIP_1) | instid1(VALU_DEP_4)
	v_add_co_ci_u32_e64 v25, s0, s5, v25, s0
	v_lshrrev_b16 v4, 2, v9
	v_add_co_u32 v32, s0, s4, v32
	s_wait_alu 0xf1ff
	v_add_co_ci_u32_e64 v33, s0, s5, v33, s0
	global_load_b128 v[37:40], v[24:25], off offset:1232
	v_cmp_lt_u32_e64 s0, 38, v0
	global_load_b128 v[41:44], v[32:33], off offset:1232
	v_and_b32_e32 v26, 0xffff, v26
	v_and_b32_e32 v4, 0xffff, v4
	v_lshlrev_b32_e32 v11, 2, v11
	s_delay_alu instid0(VALU_DEP_3) | instskip(NEXT) | instid1(VALU_DEP_3)
	v_mul_u32_u24_e32 v26, 0xd21, v26
	v_mul_u32_u24_e32 v4, 0xd21, v4
	s_delay_alu instid0(VALU_DEP_2) | instskip(NEXT) | instid1(VALU_DEP_2)
	v_lshrrev_b32_e32 v26, 17, v26
	v_lshrrev_b32_e32 v4, 17, v4
	s_delay_alu instid0(VALU_DEP_2) | instskip(NEXT) | instid1(VALU_DEP_2)
	v_mul_lo_u16 v32, 0x9c, v26
	v_mul_lo_u16 v4, 0x9c, v4
	s_delay_alu instid0(VALU_DEP_2) | instskip(NEXT) | instid1(VALU_DEP_2)
	v_sub_nc_u16 v7, v7, v32
	v_sub_nc_u16 v4, v9, v4
	s_delay_alu instid0(VALU_DEP_2) | instskip(NEXT) | instid1(VALU_DEP_2)
	v_and_b32_e32 v7, 0xffff, v7
	v_and_b32_e32 v4, 0xffff, v4
	s_delay_alu instid0(VALU_DEP_2) | instskip(NEXT) | instid1(VALU_DEP_2)
	v_lshlrev_b32_e32 v9, 4, v7
	v_lshlrev_b32_e32 v32, 4, v4
	s_clause 0x1
	global_load_b128 v[45:48], v9, s[4:5] offset:1232
	global_load_b128 v[49:52], v32, s[4:5] offset:1232
	ds_load_2addr_b32 v[32:33], v27 offset0:84 offset1:201
	ds_load_2addr_b32 v[53:54], v28 offset0:40 offset1:157
	s_wait_alu 0xf1ff
	v_cndmask_b32_e64 v9, 0, 0x750, s0
	ds_load_2addr_b32 v[55:56], v1 offset1:117
	ds_load_2addr_b32 v[57:58], v29 offset0:106 offset1:223
	ds_load_2addr_b32 v[59:60], v30 offset0:62 offset1:179
	;; [unrolled: 1-line block ×3, first 2 shown]
	global_wb scope:SCOPE_SE
	s_wait_loadcnt_dscnt 0x0
	s_barrier_signal -1
	s_barrier_wait -1
	v_add3_u32 v9, 0, v9, v11
	v_mul_u32_u24_e32 v11, 0x750, v26
	global_inv scope:SCOPE_SE
	v_dual_mul_f32 v26, v22, v38 :: v_dual_lshlrev_b32 v7, 2, v7
	v_mul_f32_e32 v34, v53, v40
	s_delay_alu instid0(VALU_DEP_2) | instskip(SKIP_2) | instid1(VALU_DEP_2)
	v_add3_u32 v7, 0, v11, v7
	v_mul_f32_e32 v11, v32, v38
	v_mul_f32_e32 v38, v20, v40
	v_dual_fmac_f32 v34, v20, v39 :: v_dual_fmac_f32 v11, v22, v37
	v_fma_f32 v22, v32, v37, -v26
	v_mul_f32_e32 v37, v54, v44
	s_delay_alu instid0(VALU_DEP_4) | instskip(SKIP_2) | instid1(VALU_DEP_4)
	v_fma_f32 v20, v53, v39, -v38
	v_mul_f32_e32 v26, v33, v42
	v_dual_mul_f32 v32, v23, v42 :: v_dual_add_f32 v39, v14, v11
	v_fmac_f32_e32 v37, v21, v43
	v_lshl_add_u32 v4, v4, 2, 0
	v_add_f32_e32 v53, v55, v22
	v_fmac_f32_e32 v26, v23, v41
	v_mul_f32_e32 v38, v21, v44
	v_fma_f32 v23, v33, v41, -v32
	v_sub_f32_e32 v44, v22, v20
	v_add_f32_e32 v22, v22, v20
	v_add_nc_u32_e32 v40, 0xe00, v4
	v_dual_add_f32 v42, v11, v34 :: v_dual_add_f32 v33, v53, v20
	v_sub_f32_e32 v11, v11, v34
	v_add_f32_e32 v41, v56, v23
	v_fma_f32 v32, -0.5, v22, v55
	s_delay_alu instid0(VALU_DEP_4) | instskip(SKIP_1) | instid1(VALU_DEP_3)
	v_fma_f32 v14, -0.5, v42, v14
	v_add_f32_e32 v22, v39, v34
	v_fmamk_f32 v34, v11, 0x3f5db3d7, v32
	v_dual_fmac_f32 v32, 0xbf5db3d7, v11 :: v_dual_add_f32 v11, v15, v26
	v_fma_f32 v21, v54, v43, -v38
	v_mul_f32_e32 v43, v18, v46
	v_mul_f32_e32 v53, v62, v52
	v_add_f32_e32 v38, v26, v37
	s_delay_alu instid0(VALU_DEP_4)
	v_dual_mul_f32 v52, v17, v52 :: v_dual_sub_f32 v39, v23, v21
	v_dual_fmamk_f32 v20, v44, 0xbf5db3d7, v14 :: v_dual_add_f32 v23, v23, v21
	v_dual_fmac_f32 v14, 0x3f5db3d7, v44 :: v_dual_add_f32 v11, v11, v37
	v_fmac_f32_e32 v53, v17, v51
	v_dual_fmac_f32 v15, -0.5, v38 :: v_dual_sub_f32 v26, v26, v37
	v_mul_f32_e32 v42, v59, v46
	v_fmac_f32_e32 v56, -0.5, v23
	v_mul_f32_e32 v44, v61, v48
	v_mul_f32_e32 v46, v16, v48
	ds_store_2addr_b32 v1, v22, v20 offset1:156
	ds_store_b32 v1, v14 offset:1248
	v_fma_f32 v14, v59, v45, -v43
	v_dual_mul_f32 v48, v60, v50 :: v_dual_fmamk_f32 v17, v39, 0xbf5db3d7, v15
	v_fmac_f32_e32 v15, 0x3f5db3d7, v39
	v_fmamk_f32 v39, v26, 0x3f5db3d7, v56
	v_fmac_f32_e32 v44, v16, v47
	v_fmac_f32_e32 v42, v18, v45
	v_dual_mul_f32 v50, v19, v50 :: v_dual_add_f32 v37, v41, v21
	ds_store_2addr_b32 v9, v11, v17 offset1:156
	ds_store_b32 v9, v15 offset:1248
	v_dual_add_f32 v22, v57, v14 :: v_dual_sub_f32 v23, v42, v44
	v_fma_f32 v18, v60, v49, -v50
	s_delay_alu instid0(VALU_DEP_1) | instskip(SKIP_1) | instid1(VALU_DEP_1)
	v_add_f32_e32 v43, v58, v18
	v_fma_f32 v16, v61, v47, -v46
	v_dual_sub_f32 v21, v14, v16 :: v_dual_fmac_f32 v48, v19, v49
	v_add_f32_e32 v19, v12, v42
	v_fma_f32 v38, v62, v51, -v52
	s_delay_alu instid0(VALU_DEP_3) | instskip(SKIP_2) | instid1(VALU_DEP_3)
	v_dual_add_f32 v14, v14, v16 :: v_dual_add_f32 v41, v48, v53
	v_fmac_f32_e32 v56, 0xbf5db3d7, v26
	v_add_f32_e32 v26, v13, v48
	v_fma_f32 v46, -0.5, v14, v57
	s_delay_alu instid0(VALU_DEP_4)
	v_fmac_f32_e32 v13, -0.5, v41
	v_add_f32_e32 v11, v19, v44
	v_add_f32_e32 v20, v42, v44
	v_sub_f32_e32 v42, v18, v38
	v_add_f32_e32 v18, v18, v38
	v_add_f32_e32 v44, v22, v16
	;; [unrolled: 1-line block ×3, first 2 shown]
	v_fma_f32 v12, -0.5, v20, v12
	v_fmamk_f32 v16, v42, 0xbf5db3d7, v13
	v_fmac_f32_e32 v13, 0x3f5db3d7, v42
	v_fmac_f32_e32 v58, -0.5, v18
	v_fmamk_f32 v26, v23, 0x3f5db3d7, v46
	v_fmamk_f32 v15, v21, 0xbf5db3d7, v12
	v_fmac_f32_e32 v12, 0x3f5db3d7, v21
	v_fmac_f32_e32 v46, 0xbf5db3d7, v23
	ds_store_2addr_b32 v7, v11, v15 offset1:156
	ds_store_b32 v7, v12 offset:1248
	ds_store_2addr_b32 v40, v14, v16 offset0:40 offset1:196
	ds_store_b32 v4, v13 offset:4992
	global_wb scope:SCOPE_SE
	s_wait_dscnt 0x0
	s_barrier_signal -1
	s_barrier_wait -1
	global_inv scope:SCOPE_SE
	ds_load_2addr_b32 v[12:13], v1 offset1:117
	ds_load_2addr_b32 v[16:17], v27 offset0:84 offset1:201
	ds_load_2addr_b32 v[18:19], v28 offset0:40 offset1:157
	;; [unrolled: 1-line block ×5, first 2 shown]
	v_sub_f32_e32 v45, v48, v53
	v_add_f32_e32 v11, v43, v38
	global_wb scope:SCOPE_SE
	s_wait_dscnt 0x0
	s_barrier_signal -1
	s_barrier_wait -1
	v_fmamk_f32 v27, v45, 0x3f5db3d7, v58
	v_fmac_f32_e32 v58, 0xbf5db3d7, v45
	global_inv scope:SCOPE_SE
	ds_store_2addr_b32 v1, v33, v34 offset1:156
	ds_store_b32 v1, v32 offset:1248
	ds_store_2addr_b32 v9, v37, v39 offset1:156
	ds_store_b32 v9, v56 offset:1248
	;; [unrolled: 2-line block ×3, first 2 shown]
	ds_store_2addr_b32 v40, v11, v27 offset0:40 offset1:196
	ds_store_b32 v4, v58 offset:4992
	global_wb scope:SCOPE_SE
	s_wait_dscnt 0x0
	s_barrier_signal -1
	s_barrier_wait -1
	global_inv scope:SCOPE_SE
	s_and_saveexec_b32 s0, vcc_lo
	s_cbranch_execz .LBB0_21
; %bb.20:
	v_dual_mov_b32 v11, v5 :: v_dual_add_nc_u32 v4, 0xa00, v1
	v_dual_mov_b32 v9, v5 :: v_dual_add_nc_u32 v34, 0x200, v1
	v_mov_b32_e32 v7, v5
	s_delay_alu instid0(VALU_DEP_3) | instskip(SKIP_1) | instid1(VALU_DEP_4)
	v_lshlrev_b64_e32 v[10:11], 3, v[10:11]
	v_mul_hi_u32 v41, 0x46046047, v35
	v_lshlrev_b64_e32 v[8:9], 3, v[8:9]
	s_delay_alu instid0(VALU_DEP_4) | instskip(NEXT) | instid1(VALU_DEP_4)
	v_lshlrev_b64_e32 v[26:27], 3, v[6:7]
	v_add_co_u32 v6, vcc_lo, s4, v10
	s_wait_alu 0xfffd
	v_add_co_ci_u32_e32 v7, vcc_lo, s5, v11, vcc_lo
	s_delay_alu instid0(VALU_DEP_4)
	v_add_co_u32 v10, vcc_lo, s4, v8
	s_wait_alu 0xfffd
	v_add_co_ci_u32_e32 v11, vcc_lo, s5, v9, vcc_lo
	v_add_co_u32 v30, vcc_lo, s4, v26
	s_wait_alu 0xfffd
	v_add_co_ci_u32_e32 v31, vcc_lo, s5, v27, vcc_lo
	s_clause 0x3
	global_load_b128 v[6:9], v[6:7], off offset:3728
	global_load_b128 v[26:29], v[10:11], off offset:3728
	;; [unrolled: 1-line block ×4, first 2 shown]
	v_mul_hi_u32 v24, 0x46046047, v36
	v_add_nc_u32_e32 v36, 0x600, v1
	v_add_nc_u32_e32 v25, 0x1200, v1
	ds_load_2addr_b32 v[10:11], v1 offset1:117
	v_add_nc_u32_e32 v43, 0xe00, v1
	v_mov_b32_e32 v1, v5
	v_add_co_u32 v47, vcc_lo, s8, v2
	v_lshrrev_b32_e32 v42, 5, v24
	s_wait_alu 0xfffd
	v_add_co_ci_u32_e32 v48, vcc_lo, s9, v3, vcc_lo
	ds_load_2addr_b32 v[2:3], v4 offset0:62 offset1:179
	ds_load_2addr_b32 v[24:25], v25 offset0:18 offset1:135
	;; [unrolled: 1-line block ×3, first 2 shown]
	v_lshrrev_b32_e32 v49, 5, v41
	v_mul_u32_u24_e32 v4, 0x3a8, v42
	s_delay_alu instid0(VALU_DEP_1) | instskip(NEXT) | instid1(VALU_DEP_3)
	v_lshlrev_b64_e32 v[45:46], 3, v[4:5]
	v_mul_u32_u24_e32 v4, 0x3a8, v49
	s_delay_alu instid0(VALU_DEP_1)
	v_lshlrev_b64_e32 v[4:5], 3, v[4:5]
	s_wait_loadcnt 0x1
	v_mul_f32_e32 v50, v17, v31
	s_wait_loadcnt 0x0
	v_mul_f32_e32 v52, v16, v38
	v_lshlrev_b64_e32 v[0:1], 3, v[0:1]
	s_delay_alu instid0(VALU_DEP_1) | instskip(SKIP_1) | instid1(VALU_DEP_2)
	v_add_co_u32 v0, vcc_lo, v47, v0
	s_wait_alu 0xfffd
	v_add_co_ci_u32_e32 v1, vcc_lo, v48, v1, vcc_lo
	v_mul_f32_e32 v48, v20, v27
	ds_load_2addr_b32 v[41:42], v36 offset0:84 offset1:201
	ds_load_2addr_b32 v[43:44], v43 offset0:40 offset1:157
	v_dual_mul_f32 v36, v21, v6 :: v_dual_mul_f32 v47, v23, v8
	v_mul_f32_e32 v21, v21, v7
	v_mul_f32_e32 v23, v23, v9
	s_wait_dscnt 0x4
	s_delay_alu instid0(VALU_DEP_3)
	v_dual_mul_f32 v49, v22, v29 :: v_dual_fmac_f32 v36, v3, v7
	v_add_co_u32 v45, vcc_lo, v0, v45
	s_wait_alu 0xfffd
	v_add_co_ci_u32_e32 v46, vcc_lo, v1, v46, vcc_lo
	v_add_co_u32 v4, vcc_lo, v0, v4
	s_wait_alu 0xfffd
	v_add_co_ci_u32_e32 v5, vcc_lo, v1, v5, vcc_lo
	s_wait_dscnt 0x1
	v_dual_mul_f32 v38, v41, v38 :: v_dual_mul_f32 v27, v2, v27
	v_fma_f32 v2, v2, v26, -v48
	v_fmac_f32_e32 v47, v25, v9
	v_fma_f32 v7, v42, v30, -v50
	s_delay_alu instid0(VALU_DEP_4)
	v_fmac_f32_e32 v38, v16, v37
	v_fmac_f32_e32 v27, v20, v26
	v_mul_f32_e32 v53, v18, v40
	s_wait_dscnt 0x0
	v_mul_f32_e32 v40, v43, v40
	v_fma_f32 v3, v3, v6, -v21
	v_fma_f32 v6, v25, v8, -v23
	v_mul_f32_e32 v31, v42, v31
	s_delay_alu instid0(VALU_DEP_4) | instskip(SKIP_1) | instid1(VALU_DEP_4)
	v_dual_mul_f32 v29, v24, v29 :: v_dual_fmac_f32 v40, v18, v39
	v_fma_f32 v21, v24, v28, -v49
	v_sub_f32_e32 v24, v3, v6
	s_delay_alu instid0(VALU_DEP_4) | instskip(SKIP_4) | instid1(VALU_DEP_4)
	v_fmac_f32_e32 v31, v17, v30
	v_dual_add_f32 v30, v34, v2 :: v_dual_mul_f32 v51, v19, v33
	v_add_f32_e32 v16, v36, v47
	v_dual_mul_f32 v33, v44, v33 :: v_dual_add_f32 v18, v15, v36
	v_fma_f32 v8, v41, v37, -v52
	v_fma_f32 v20, v44, v32, -v51
	v_dual_sub_f32 v23, v36, v47 :: v_dual_add_f32 v44, v38, v40
	s_delay_alu instid0(VALU_DEP_4) | instskip(SKIP_1) | instid1(VALU_DEP_4)
	v_fmac_f32_e32 v33, v19, v32
	v_add_f32_e32 v9, v3, v6
	v_add_f32_e32 v32, v7, v20
	v_fmac_f32_e32 v29, v22, v28
	v_sub_f32_e32 v28, v2, v21
	v_sub_f32_e32 v36, v31, v33
	v_add_f32_e32 v19, v2, v21
	v_fma_f32 v2, -0.5, v16, v15
	v_add_f32_e32 v26, v27, v29
	v_fma_f32 v22, v43, v39, -v53
	v_add_f32_e32 v17, v3, v35
	s_delay_alu instid0(VALU_DEP_2)
	v_dual_add_f32 v41, v11, v7 :: v_dual_add_f32 v42, v8, v22
	v_dual_add_f32 v37, v31, v33 :: v_dual_sub_f32 v48, v8, v22
	v_add_f32_e32 v49, v10, v8
	v_fma_f32 v8, -0.5, v26, v14
	v_sub_f32_e32 v39, v7, v20
	v_dual_sub_f32 v43, v38, v40 :: v_dual_add_f32 v38, v12, v38
	v_add_f32_e32 v7, v6, v17
	v_fma_f32 v17, -0.5, v32, v11
	v_fma_f32 v11, -0.5, v42, v10
	;; [unrolled: 1-line block ×3, first 2 shown]
	v_add_f32_e32 v31, v13, v31
	v_dual_sub_f32 v25, v27, v29 :: v_dual_add_f32 v12, v38, v40
	v_add_f32_e32 v27, v14, v27
	v_add_f32_e32 v6, v18, v47
	s_delay_alu instid0(VALU_DEP_4)
	v_add_f32_e32 v18, v31, v33
	v_fma_f32 v3, -0.5, v9, v35
	v_fma_f32 v9, -0.5, v19, v34
	v_dual_add_f32 v19, v41, v20 :: v_dual_fmamk_f32 v20, v24, 0xbf5db3d7, v2
	v_fma_f32 v16, -0.5, v37, v13
	v_dual_fmamk_f32 v26, v48, 0x3f5db3d7, v10 :: v_dual_add_f32 v13, v49, v22
	v_add_f32_e32 v14, v27, v29
	v_fmac_f32_e32 v2, 0x3f5db3d7, v24
	v_fmamk_f32 v22, v28, 0x3f5db3d7, v8
	v_fmac_f32_e32 v8, 0xbf5db3d7, v28
	v_fmamk_f32 v24, v39, 0x3f5db3d7, v16
	v_fmamk_f32 v27, v43, 0xbf5db3d7, v11
	v_fmac_f32_e32 v11, 0x3f5db3d7, v43
	v_dual_fmac_f32 v10, 0xbf5db3d7, v48 :: v_dual_add_f32 v15, v30, v21
	v_fmac_f32_e32 v16, 0xbf5db3d7, v39
	v_fmamk_f32 v21, v23, 0x3f5db3d7, v3
	v_fmac_f32_e32 v3, 0xbf5db3d7, v23
	v_fmamk_f32 v23, v25, 0xbf5db3d7, v9
	;; [unrolled: 2-line block ×3, first 2 shown]
	v_fmac_f32_e32 v17, 0x3f5db3d7, v36
	s_clause 0xb
	global_store_b64 v[0:1], v[12:13], off
	global_store_b64 v[0:1], v[18:19], off offset:936
	global_store_b64 v[0:1], v[10:11], off offset:3744
	;; [unrolled: 1-line block ×11, first 2 shown]
.LBB0_21:
	s_nop 0
	s_sendmsg sendmsg(MSG_DEALLOC_VGPRS)
	s_endpgm
	.section	.rodata,"a",@progbits
	.p2align	6, 0x0
	.amdhsa_kernel fft_rtc_back_len1404_factors_2_2_3_13_3_3_wgs_117_tpt_117_halfLds_sp_ip_CI_unitstride_sbrr_dirReg
		.amdhsa_group_segment_fixed_size 0
		.amdhsa_private_segment_fixed_size 0
		.amdhsa_kernarg_size 88
		.amdhsa_user_sgpr_count 2
		.amdhsa_user_sgpr_dispatch_ptr 0
		.amdhsa_user_sgpr_queue_ptr 0
		.amdhsa_user_sgpr_kernarg_segment_ptr 1
		.amdhsa_user_sgpr_dispatch_id 0
		.amdhsa_user_sgpr_private_segment_size 0
		.amdhsa_wavefront_size32 1
		.amdhsa_uses_dynamic_stack 0
		.amdhsa_enable_private_segment 0
		.amdhsa_system_sgpr_workgroup_id_x 1
		.amdhsa_system_sgpr_workgroup_id_y 0
		.amdhsa_system_sgpr_workgroup_id_z 0
		.amdhsa_system_sgpr_workgroup_info 0
		.amdhsa_system_vgpr_workitem_id 0
		.amdhsa_next_free_vgpr 83
		.amdhsa_next_free_sgpr 32
		.amdhsa_reserve_vcc 1
		.amdhsa_float_round_mode_32 0
		.amdhsa_float_round_mode_16_64 0
		.amdhsa_float_denorm_mode_32 3
		.amdhsa_float_denorm_mode_16_64 3
		.amdhsa_fp16_overflow 0
		.amdhsa_workgroup_processor_mode 1
		.amdhsa_memory_ordered 1
		.amdhsa_forward_progress 0
		.amdhsa_round_robin_scheduling 0
		.amdhsa_exception_fp_ieee_invalid_op 0
		.amdhsa_exception_fp_denorm_src 0
		.amdhsa_exception_fp_ieee_div_zero 0
		.amdhsa_exception_fp_ieee_overflow 0
		.amdhsa_exception_fp_ieee_underflow 0
		.amdhsa_exception_fp_ieee_inexact 0
		.amdhsa_exception_int_div_zero 0
	.end_amdhsa_kernel
	.text
.Lfunc_end0:
	.size	fft_rtc_back_len1404_factors_2_2_3_13_3_3_wgs_117_tpt_117_halfLds_sp_ip_CI_unitstride_sbrr_dirReg, .Lfunc_end0-fft_rtc_back_len1404_factors_2_2_3_13_3_3_wgs_117_tpt_117_halfLds_sp_ip_CI_unitstride_sbrr_dirReg
                                        ; -- End function
	.section	.AMDGPU.csdata,"",@progbits
; Kernel info:
; codeLenInByte = 10156
; NumSgprs: 34
; NumVgprs: 83
; ScratchSize: 0
; MemoryBound: 0
; FloatMode: 240
; IeeeMode: 1
; LDSByteSize: 0 bytes/workgroup (compile time only)
; SGPRBlocks: 4
; VGPRBlocks: 10
; NumSGPRsForWavesPerEU: 34
; NumVGPRsForWavesPerEU: 83
; Occupancy: 16
; WaveLimiterHint : 1
; COMPUTE_PGM_RSRC2:SCRATCH_EN: 0
; COMPUTE_PGM_RSRC2:USER_SGPR: 2
; COMPUTE_PGM_RSRC2:TRAP_HANDLER: 0
; COMPUTE_PGM_RSRC2:TGID_X_EN: 1
; COMPUTE_PGM_RSRC2:TGID_Y_EN: 0
; COMPUTE_PGM_RSRC2:TGID_Z_EN: 0
; COMPUTE_PGM_RSRC2:TIDIG_COMP_CNT: 0
	.text
	.p2alignl 7, 3214868480
	.fill 96, 4, 3214868480
	.type	__hip_cuid_11d798233a9520f2,@object ; @__hip_cuid_11d798233a9520f2
	.section	.bss,"aw",@nobits
	.globl	__hip_cuid_11d798233a9520f2
__hip_cuid_11d798233a9520f2:
	.byte	0                               ; 0x0
	.size	__hip_cuid_11d798233a9520f2, 1

	.ident	"AMD clang version 19.0.0git (https://github.com/RadeonOpenCompute/llvm-project roc-6.4.0 25133 c7fe45cf4b819c5991fe208aaa96edf142730f1d)"
	.section	".note.GNU-stack","",@progbits
	.addrsig
	.addrsig_sym __hip_cuid_11d798233a9520f2
	.amdgpu_metadata
---
amdhsa.kernels:
  - .args:
      - .actual_access:  read_only
        .address_space:  global
        .offset:         0
        .size:           8
        .value_kind:     global_buffer
      - .offset:         8
        .size:           8
        .value_kind:     by_value
      - .actual_access:  read_only
        .address_space:  global
        .offset:         16
        .size:           8
        .value_kind:     global_buffer
      - .actual_access:  read_only
        .address_space:  global
        .offset:         24
        .size:           8
        .value_kind:     global_buffer
      - .offset:         32
        .size:           8
        .value_kind:     by_value
      - .actual_access:  read_only
        .address_space:  global
        .offset:         40
        .size:           8
        .value_kind:     global_buffer
      - .actual_access:  read_only
        .address_space:  global
        .offset:         48
        .size:           8
        .value_kind:     global_buffer
      - .offset:         56
        .size:           4
        .value_kind:     by_value
      - .actual_access:  read_only
        .address_space:  global
        .offset:         64
        .size:           8
        .value_kind:     global_buffer
      - .actual_access:  read_only
        .address_space:  global
        .offset:         72
        .size:           8
        .value_kind:     global_buffer
      - .address_space:  global
        .offset:         80
        .size:           8
        .value_kind:     global_buffer
    .group_segment_fixed_size: 0
    .kernarg_segment_align: 8
    .kernarg_segment_size: 88
    .language:       OpenCL C
    .language_version:
      - 2
      - 0
    .max_flat_workgroup_size: 117
    .name:           fft_rtc_back_len1404_factors_2_2_3_13_3_3_wgs_117_tpt_117_halfLds_sp_ip_CI_unitstride_sbrr_dirReg
    .private_segment_fixed_size: 0
    .sgpr_count:     34
    .sgpr_spill_count: 0
    .symbol:         fft_rtc_back_len1404_factors_2_2_3_13_3_3_wgs_117_tpt_117_halfLds_sp_ip_CI_unitstride_sbrr_dirReg.kd
    .uniform_work_group_size: 1
    .uses_dynamic_stack: false
    .vgpr_count:     83
    .vgpr_spill_count: 0
    .wavefront_size: 32
    .workgroup_processor_mode: 1
amdhsa.target:   amdgcn-amd-amdhsa--gfx1201
amdhsa.version:
  - 1
  - 2
...

	.end_amdgpu_metadata
